;; amdgpu-corpus repo=ROCm/rocSPARSE kind=compiled arch=gfx90a opt=O3
	.text
	.amdgcn_target "amdgcn-amd-amdhsa--gfx90a"
	.amdhsa_code_object_version 6
	.section	.text._ZN9rocsparseL29bsrmm_general_blockdim_kernelILj32ELj32EiiffffEEvb20rocsparse_direction_T2_S2_llNS_24const_host_device_scalarIT6_EEPKT1_PKS2_PKT3_S2_PKT4_llS5_PT5_ll16rocsparse_order_21rocsparse_index_base_b,"axG",@progbits,_ZN9rocsparseL29bsrmm_general_blockdim_kernelILj32ELj32EiiffffEEvb20rocsparse_direction_T2_S2_llNS_24const_host_device_scalarIT6_EEPKT1_PKS2_PKT3_S2_PKT4_llS5_PT5_ll16rocsparse_order_21rocsparse_index_base_b,comdat
	.globl	_ZN9rocsparseL29bsrmm_general_blockdim_kernelILj32ELj32EiiffffEEvb20rocsparse_direction_T2_S2_llNS_24const_host_device_scalarIT6_EEPKT1_PKS2_PKT3_S2_PKT4_llS5_PT5_ll16rocsparse_order_21rocsparse_index_base_b ; -- Begin function _ZN9rocsparseL29bsrmm_general_blockdim_kernelILj32ELj32EiiffffEEvb20rocsparse_direction_T2_S2_llNS_24const_host_device_scalarIT6_EEPKT1_PKS2_PKT3_S2_PKT4_llS5_PT5_ll16rocsparse_order_21rocsparse_index_base_b
	.p2align	8
	.type	_ZN9rocsparseL29bsrmm_general_blockdim_kernelILj32ELj32EiiffffEEvb20rocsparse_direction_T2_S2_llNS_24const_host_device_scalarIT6_EEPKT1_PKS2_PKT3_S2_PKT4_llS5_PT5_ll16rocsparse_order_21rocsparse_index_base_b,@function
_ZN9rocsparseL29bsrmm_general_blockdim_kernelILj32ELj32EiiffffEEvb20rocsparse_direction_T2_S2_llNS_24const_host_device_scalarIT6_EEPKT1_PKS2_PKT3_S2_PKT4_llS5_PT5_ll16rocsparse_order_21rocsparse_index_base_b: ; @_ZN9rocsparseL29bsrmm_general_blockdim_kernelILj32ELj32EiiffffEEvb20rocsparse_direction_T2_S2_llNS_24const_host_device_scalarIT6_EEPKT1_PKS2_PKT3_S2_PKT4_llS5_PT5_ll16rocsparse_order_21rocsparse_index_base_b
; %bb.0:
	s_load_dwordx4 s[8:11], s[4:5], 0x80
	s_mov_b32 s0, s7
	s_waitcnt lgkmcnt(0)
	s_bitcmp1_b32 s10, 0
	s_load_dwordx2 s[10:11], s[4:5], 0x20
	s_load_dwordx2 s[28:29], s[4:5], 0x60
	s_cselect_b64 s[12:13], -1, 0
	s_xor_b64 s[2:3], s[12:13], -1
	s_and_b64 vcc, exec, s[12:13]
	s_cbranch_vccnz .LBB0_2
; %bb.1:
	s_waitcnt lgkmcnt(0)
	s_load_dword s10, s[10:11], 0x0
.LBB0_2:
	s_andn2_b64 vcc, exec, s[2:3]
	s_cbranch_vccnz .LBB0_4
; %bb.3:
	s_waitcnt lgkmcnt(0)
	s_load_dword s28, s[28:29], 0x0
.LBB0_4:
	s_waitcnt lgkmcnt(0)
	v_cmp_eq_f32_e64 s[2:3], s10, 0
	v_cmp_eq_f32_e64 s[12:13], s28, 1.0
	s_and_b64 s[2:3], s[2:3], s[12:13]
	s_mov_b32 s11, 0
	s_and_b64 vcc, exec, s[2:3]
	s_cbranch_vccnz .LBB0_57
; %bb.5:
	s_load_dwordx4 s[24:27], s[4:5], 0x0
	s_load_dwordx2 s[12:13], s[4:5], 0x28
	s_waitcnt lgkmcnt(0)
	s_cmp_lt_i32 s6, s26
	s_cselect_b64 s[2:3], -1, 0
	s_cmp_ge_i32 s6, s26
	s_cbranch_scc0 .LBB0_8
; %bb.6:
	s_andn2_b64 vcc, exec, s[2:3]
	s_mov_b32 s29, 0
	s_cbranch_vccz .LBB0_9
.LBB0_7:
	s_load_dword s33, s[4:5], 0x40
	s_waitcnt lgkmcnt(0)
	s_cmp_lt_i32 s33, 1
	s_cbranch_scc0 .LBB0_10
	s_branch .LBB0_57
.LBB0_8:
	s_ashr_i32 s7, s6, 31
	s_lshl_b64 s[14:15], s[6:7], 2
	s_add_u32 s14, s12, s14
	s_addc_u32 s15, s13, s15
	s_load_dword s1, s[14:15], 0x0
	s_waitcnt lgkmcnt(0)
	s_sub_i32 s11, s1, s9
	s_andn2_b64 vcc, exec, s[2:3]
	s_mov_b32 s29, 0
	s_cbranch_vccnz .LBB0_7
.LBB0_9:
	s_ashr_i32 s7, s6, 31
	s_lshl_b64 s[14:15], s[6:7], 2
	s_add_u32 s12, s12, s14
	s_addc_u32 s13, s13, s15
	s_load_dword s1, s[12:13], 0x4
	s_waitcnt lgkmcnt(0)
	s_sub_i32 s29, s1, s9
	s_load_dword s33, s[4:5], 0x40
	s_waitcnt lgkmcnt(0)
	s_cmp_lt_i32 s33, 1
	s_cbranch_scc1 .LBB0_57
.LBB0_10:
	s_load_dwordx4 s[12:15], s[4:5], 0x68
	s_load_dwordx4 s[16:19], s[4:5], 0x30
	;; [unrolled: 1-line block ×3, first 2 shown]
	v_and_b32_e32 v1, 0x3ff, v0
	v_bfe_u32 v0, v0, 10, 10
	v_lshl_add_u32 v2, s0, 5, v0
	v_ashrrev_i32_e32 v3, 31, v2
	v_lshlrev_b32_e32 v6, 5, v0
	s_mul_i32 s42, s6, s33
	v_lshlrev_b64 v[4:5], 2, v[2:3]
	v_add_lshl_u32 v10, v6, v1, 2
	s_waitcnt lgkmcnt(0)
	v_mul_lo_u32 v12, v3, s22
	v_mul_lo_u32 v14, v2, s23
	v_mad_u64_u32 v[6:7], s[6:7], v2, s22, 0
	s_bitcmp1_b32 s24, 0
	v_mov_b32_e32 v13, s21
	v_add_co_u32_e32 v8, vcc, s20, v4
	v_add3_u32 v7, v7, v14, v12
	s_cselect_b64 s[4:5], -1, 0
	v_addc_co_u32_e32 v9, vcc, v13, v5, vcc
	v_lshlrev_b64 v[6:7], 2, v[6:7]
	s_xor_b64 s[30:31], s[4:5], -1
	v_add_co_u32_e32 v12, vcc, s20, v6
	s_cmp_lt_i32 s11, s29
	v_addc_co_u32_e32 v13, vcc, v13, v7, vcc
	s_cselect_b64 s[4:5], -1, 0
	v_cmp_gt_i32_e64 s[0:1], s27, v2
	s_cmp_lg_u32 s25, 0
	v_mov_b32_e32 v6, s13
	v_add_co_u32_e32 v14, vcc, s12, v4
	s_cselect_b64 s[6:7], -1, 0
	s_and_b64 s[20:21], s[2:3], s[0:1]
	v_addc_co_u32_e32 v15, vcc, v6, v5, vcc
	v_mul_lo_u32 v4, v3, s14
	v_mul_lo_u32 v5, v2, s15
	v_mad_u64_u32 v[2:3], s[2:3], v2, s14, 0
	v_add3_u32 v3, v3, v5, v4
	v_lshlrev_b64 v[2:3], 2, v[2:3]
	v_add_co_u32_e32 v16, vcc, s12, v2
	v_mov_b32_e32 v2, 0x1000
	s_mul_i32 s2, s11, s33
	v_lshl_add_u32 v19, v0, 7, v2
	v_add_u32_e32 v2, s2, v1
	v_addc_co_u32_e32 v17, vcc, v6, v3, vcc
	v_mad_u64_u32 v[2:3], s[2:3], s33, v2, v[0:1]
	s_cmp_lg_u32 s8, 1
	v_cndmask_b32_e64 v3, 0, 1, s[4:5]
	v_add_u32_e32 v11, 0x1000, v10
	s_mov_b32 s43, 0
	v_cmp_neq_f32_e64 s[24:25], s28, 0
	s_cselect_b64 s[26:27], -1, 0
	v_lshlrev_b32_e32 v18, 2, v1
	s_lshl_b32 s8, s33, 5
	s_mul_i32 s44, s33, s33
	v_cmp_ne_u32_e64 s[2:3], 1, v3
	s_branch .LBB0_12
.LBB0_11:                               ;   in Loop: Header=BB0_12 Depth=1
	s_or_b64 exec, exec, s[4:5]
	s_add_i32 s43, s43, 32
	s_cmp_lt_i32 s43, s33
	v_add_u32_e32 v2, s8, v2
	s_cbranch_scc0 .LBB0_57
.LBB0_12:                               ; =>This Loop Header: Depth=1
                                        ;     Child Loop BB0_15 Depth 2
                                        ;       Child Loop BB0_17 Depth 3
	v_add_u32_e32 v4, s43, v1
	s_and_b64 vcc, exec, s[2:3]
	v_mov_b32_e32 v3, 0
	v_cmp_gt_i32_e64 s[4:5], s33, v4
	s_cbranch_vccnz .LBB0_45
; %bb.13:                               ;   in Loop: Header=BB0_12 Depth=1
	v_mov_b32_e32 v3, 0
	v_mov_b32_e32 v5, v2
	s_mov_b32 s12, s11
	s_branch .LBB0_15
.LBB0_14:                               ;   in Loop: Header=BB0_15 Depth=2
	s_add_i32 s12, s12, 1
	s_cmp_ge_i32 s12, s29
	v_add_u32_e32 v5, s44, v5
	s_cbranch_scc1 .LBB0_45
.LBB0_15:                               ;   Parent Loop BB0_12 Depth=1
                                        ; =>  This Loop Header: Depth=2
                                        ;       Child Loop BB0_17 Depth 3
	s_ashr_i32 s13, s12, 31
	s_lshl_b64 s[34:35], s[12:13], 2
	s_add_u32 s34, s16, s34
	s_addc_u32 s35, s17, s35
	s_load_dword s34, s[34:35], 0x0
	s_mul_i32 s13, s12, s33
	s_mov_b32 s45, 0
	s_waitcnt lgkmcnt(0)
	s_sub_i32 s34, s34, s9
	s_mul_i32 s34, s34, s33
	v_add_u32_e32 v20, s34, v1
	s_branch .LBB0_17
.LBB0_16:                               ;   in Loop: Header=BB0_17 Depth=3
	s_or_b64 exec, exec, s[36:37]
	s_waitcnt vmcnt(0)
	ds_write_b32 v10, v7
	s_waitcnt lgkmcnt(0)
	s_barrier
	ds_read2_b32 v[6:7], v18 offset1:32
	ds_read_b128 v[22:25], v19
	ds_read_b128 v[26:29], v19 offset:16
	ds_read2_b32 v[38:39], v18 offset0:64 offset1:96
	ds_read_b128 v[30:33], v19 offset:32
	ds_read_b128 v[34:37], v19 offset:48
	ds_read2_b32 v[40:41], v18 offset0:128 offset1:160
	s_waitcnt lgkmcnt(5)
	v_fmac_f32_e32 v3, v6, v22
	v_fmac_f32_e32 v3, v7, v23
	ds_read2_b32 v[6:7], v18 offset0:192 offset1:224
	s_waitcnt lgkmcnt(4)
	v_fmac_f32_e32 v3, v38, v24
	v_fmac_f32_e32 v3, v39, v25
	s_waitcnt lgkmcnt(1)
	v_fmac_f32_e32 v3, v40, v26
	v_add_u32_e32 v21, 0x400, v18
	ds_read2_b32 v[22:23], v21 offset1:32
	v_fmac_f32_e32 v3, v41, v27
	s_waitcnt lgkmcnt(1)
	v_fmac_f32_e32 v3, v6, v28
	v_fmac_f32_e32 v3, v7, v29
	ds_read2_b32 v[6:7], v21 offset0:64 offset1:96
	ds_read2_b32 v[24:25], v21 offset0:128 offset1:160
	s_waitcnt lgkmcnt(2)
	v_fmac_f32_e32 v3, v22, v30
	v_fmac_f32_e32 v3, v23, v31
	ds_read2_b32 v[26:27], v21 offset0:192 offset1:224
	s_waitcnt lgkmcnt(2)
	v_fmac_f32_e32 v3, v6, v32
	v_fmac_f32_e32 v3, v7, v33
	s_waitcnt lgkmcnt(1)
	v_fmac_f32_e32 v3, v24, v34
	v_add_u32_e32 v21, 0x800, v18
	v_fmac_f32_e32 v3, v25, v35
	ds_read2_b32 v[6:7], v21 offset1:32
	ds_read_b128 v[22:25], v19 offset:64
	s_waitcnt lgkmcnt(2)
	v_fmac_f32_e32 v3, v26, v36
	v_fmac_f32_e32 v3, v27, v37
	ds_read2_b32 v[30:31], v21 offset0:64 offset1:96
	ds_read2_b32 v[32:33], v21 offset0:128 offset1:160
	ds_read_b128 v[26:29], v19 offset:80
	s_add_i32 s45, s45, 32
	s_waitcnt lgkmcnt(3)
	v_fmac_f32_e32 v3, v6, v22
	v_fmac_f32_e32 v3, v7, v23
	ds_read2_b32 v[6:7], v21 offset0:192 offset1:224
	s_waitcnt lgkmcnt(3)
	v_fmac_f32_e32 v3, v30, v24
	v_fmac_f32_e32 v3, v31, v25
	v_add_u32_e32 v21, 0xc00, v18
	s_waitcnt lgkmcnt(1)
	v_fmac_f32_e32 v3, v32, v26
	ds_read2_b32 v[30:31], v21 offset1:32
	ds_read_b128 v[22:25], v19 offset:96
	v_fmac_f32_e32 v3, v33, v27
	s_waitcnt lgkmcnt(2)
	v_fmac_f32_e32 v3, v6, v28
	v_fmac_f32_e32 v3, v7, v29
	ds_read2_b32 v[6:7], v21 offset0:64 offset1:96
	ds_read_b128 v[26:29], v19 offset:112
	ds_read2_b32 v[32:33], v21 offset0:128 offset1:160
	s_waitcnt lgkmcnt(3)
	v_fmac_f32_e32 v3, v30, v22
	v_fmac_f32_e32 v3, v31, v23
	ds_read2_b32 v[22:23], v21 offset0:192 offset1:224
	s_waitcnt lgkmcnt(3)
	v_fmac_f32_e32 v3, v6, v24
	v_fmac_f32_e32 v3, v7, v25
	s_waitcnt lgkmcnt(1)
	v_fmac_f32_e32 v3, v32, v26
	v_fmac_f32_e32 v3, v33, v27
	;; [unrolled: 3-line block ×3, first 2 shown]
	s_cmp_ge_i32 s45, s33
	s_barrier
	s_cbranch_scc1 .LBB0_14
.LBB0_17:                               ;   Parent Loop BB0_12 Depth=1
                                        ;     Parent Loop BB0_15 Depth=2
                                        ; =>    This Inner Loop Header: Depth=3
	s_and_b64 vcc, exec, s[30:31]
	s_cbranch_vccz .LBB0_23
; %bb.18:                               ;   in Loop: Header=BB0_17 Depth=3
	s_mov_b64 s[36:37], 0
	s_mov_b64 s[34:35], 0
                                        ; implicit-def: $vgpr6_vgpr7
	s_and_saveexec_b64 s[38:39], s[0:1]
	s_cbranch_execz .LBB0_22
; %bb.19:                               ;   in Loop: Header=BB0_17 Depth=3
	v_add_u32_e32 v6, s45, v1
	v_cmp_gt_i32_e32 vcc, s33, v6
                                        ; implicit-def: $vgpr6_vgpr7
	s_and_saveexec_b64 s[40:41], vcc
	s_xor_b64 s[40:41], exec, s[40:41]
; %bb.20:                               ;   in Loop: Header=BB0_17 Depth=3
	v_add_u32_e32 v6, s45, v20
	v_ashrrev_i32_e32 v7, 31, v6
	v_mul_lo_u32 v21, v7, s22
	v_mul_lo_u32 v22, v6, s23
	v_mad_u64_u32 v[6:7], s[46:47], v6, s22, 0
	v_add3_u32 v7, v7, v22, v21
	v_lshlrev_b64 v[6:7], 2, v[6:7]
	v_add_co_u32_e32 v6, vcc, v8, v6
	s_mov_b64 s[34:35], exec
	v_addc_co_u32_e32 v7, vcc, v9, v7, vcc
; %bb.21:                               ;   in Loop: Header=BB0_17 Depth=3
	s_or_b64 exec, exec, s[40:41]
	s_and_b64 s[34:35], s[34:35], exec
.LBB0_22:                               ;   in Loop: Header=BB0_17 Depth=3
	s_or_b64 exec, exec, s[38:39]
	s_mov_b32 s38, 0
	s_and_b64 vcc, exec, s[36:37]
	s_cbranch_vccnz .LBB0_24
	s_branch .LBB0_29
.LBB0_23:                               ;   in Loop: Header=BB0_17 Depth=3
	s_mov_b64 s[34:35], 0
                                        ; implicit-def: $vgpr6_vgpr7
                                        ; implicit-def: $sgpr38
	s_cbranch_execz .LBB0_29
.LBB0_24:                               ;   in Loop: Header=BB0_17 Depth=3
                                        ; implicit-def: $vgpr6_vgpr7
	s_and_saveexec_b64 s[36:37], s[0:1]
	s_cbranch_execz .LBB0_28
; %bb.25:                               ;   in Loop: Header=BB0_17 Depth=3
	v_add_u32_e32 v6, s45, v1
	v_cmp_gt_i32_e32 vcc, s33, v6
	s_mov_b64 s[40:41], s[34:35]
                                        ; implicit-def: $vgpr6_vgpr7
	s_and_saveexec_b64 s[38:39], vcc
; %bb.26:                               ;   in Loop: Header=BB0_17 Depth=3
	v_add_u32_e32 v6, s45, v20
	v_ashrrev_i32_e32 v7, 31, v6
	v_lshlrev_b64 v[6:7], 2, v[6:7]
	v_add_co_u32_e32 v6, vcc, v12, v6
	v_addc_co_u32_e32 v7, vcc, v13, v7, vcc
	s_or_b64 s[40:41], s[34:35], exec
; %bb.27:                               ;   in Loop: Header=BB0_17 Depth=3
	s_or_b64 exec, exec, s[38:39]
	s_andn2_b64 s[34:35], s[34:35], exec
	s_and_b64 s[38:39], s[40:41], exec
	s_or_b64 s[34:35], s[34:35], s[38:39]
.LBB0_28:                               ;   in Loop: Header=BB0_17 Depth=3
	s_or_b64 exec, exec, s[36:37]
	s_mov_b32 s38, 0
.LBB0_29:                               ;   in Loop: Header=BB0_17 Depth=3
	v_mov_b32_e32 v21, s38
	s_and_saveexec_b64 s[36:37], s[34:35]
	s_cbranch_execnz .LBB0_37
; %bb.30:                               ;   in Loop: Header=BB0_17 Depth=3
	s_or_b64 exec, exec, s[36:37]
	s_and_b64 vcc, exec, s[6:7]
	ds_write_b32 v11, v21
	s_cbranch_vccz .LBB0_38
.LBB0_31:                               ;   in Loop: Header=BB0_17 Depth=3
	s_mov_b64 s[36:37], 0
	s_mov_b64 s[34:35], 0
                                        ; implicit-def: $vgpr6
	s_and_saveexec_b64 s[38:39], s[4:5]
	s_cbranch_execz .LBB0_35
; %bb.32:                               ;   in Loop: Header=BB0_17 Depth=3
	v_add_u32_e32 v7, s45, v0
	v_cmp_gt_i32_e32 vcc, s33, v7
                                        ; implicit-def: $vgpr6
	s_and_saveexec_b64 s[40:41], vcc
	s_xor_b64 s[40:41], exec, s[40:41]
; %bb.33:                               ;   in Loop: Header=BB0_17 Depth=3
	v_add_u32_e32 v6, s13, v7
	s_mov_b64 s[34:35], exec
	v_mad_u64_u32 v[6:7], s[46:47], v6, s33, v[4:5]
; %bb.34:                               ;   in Loop: Header=BB0_17 Depth=3
	s_or_b64 exec, exec, s[40:41]
	s_and_b64 s[34:35], s[34:35], exec
.LBB0_35:                               ;   in Loop: Header=BB0_17 Depth=3
	s_or_b64 exec, exec, s[38:39]
	s_mov_b32 s38, 0
	s_and_b64 vcc, exec, s[36:37]
	s_cbranch_vccnz .LBB0_39
.LBB0_36:                               ;   in Loop: Header=BB0_17 Depth=3
	v_mov_b32_e32 v7, s38
	s_and_saveexec_b64 s[36:37], s[34:35]
	s_cbranch_execz .LBB0_16
	s_branch .LBB0_44
.LBB0_37:                               ;   in Loop: Header=BB0_17 Depth=3
	global_load_dword v21, v[6:7], off
	s_or_b64 exec, exec, s[36:37]
	s_and_b64 vcc, exec, s[6:7]
	s_waitcnt vmcnt(0)
	ds_write_b32 v11, v21
	s_cbranch_vccnz .LBB0_31
.LBB0_38:                               ;   in Loop: Header=BB0_17 Depth=3
	s_mov_b64 s[34:35], 0
                                        ; implicit-def: $vgpr6
                                        ; implicit-def: $sgpr38
	s_cbranch_execz .LBB0_36
.LBB0_39:                               ;   in Loop: Header=BB0_17 Depth=3
                                        ; implicit-def: $vgpr6
	s_and_saveexec_b64 s[36:37], s[4:5]
	s_cbranch_execz .LBB0_43
; %bb.40:                               ;   in Loop: Header=BB0_17 Depth=3
	v_add_u32_e32 v6, s45, v0
	v_cmp_gt_i32_e32 vcc, s33, v6
	s_mov_b64 s[38:39], s[34:35]
                                        ; implicit-def: $vgpr6
	s_and_saveexec_b64 s[40:41], vcc
; %bb.41:                               ;   in Loop: Header=BB0_17 Depth=3
	v_add_u32_e32 v6, s45, v5
	s_or_b64 s[38:39], s[34:35], exec
; %bb.42:                               ;   in Loop: Header=BB0_17 Depth=3
	s_or_b64 exec, exec, s[40:41]
	s_andn2_b64 s[34:35], s[34:35], exec
	s_and_b64 s[38:39], s[38:39], exec
	s_or_b64 s[34:35], s[34:35], s[38:39]
.LBB0_43:                               ;   in Loop: Header=BB0_17 Depth=3
	s_or_b64 exec, exec, s[36:37]
	s_mov_b32 s38, 0
	v_mov_b32_e32 v7, s38
	s_and_saveexec_b64 s[36:37], s[34:35]
	s_cbranch_execz .LBB0_16
.LBB0_44:                               ;   in Loop: Header=BB0_17 Depth=3
	v_ashrrev_i32_e32 v7, 31, v6
	v_lshlrev_b64 v[6:7], 2, v[6:7]
	v_mov_b32_e32 v21, s19
	v_add_co_u32_e32 v6, vcc, s18, v6
	v_addc_co_u32_e32 v7, vcc, v21, v7, vcc
	global_load_dword v7, v[6:7], off
	s_branch .LBB0_16
.LBB0_45:                               ;   in Loop: Header=BB0_12 Depth=1
	v_cmp_gt_i32_e32 vcc, s33, v4
	s_and_b64 s[12:13], s[20:21], vcc
	s_and_saveexec_b64 s[4:5], s[12:13]
	s_cbranch_execz .LBB0_11
; %bb.46:                               ;   in Loop: Header=BB0_12 Depth=1
	v_add_u32_e32 v4, s42, v4
	s_and_b64 vcc, exec, s[24:25]
	v_ashrrev_i32_e32 v5, 31, v4
	s_mov_b64 s[12:13], -1
	s_cbranch_vccz .LBB0_52
; %bb.47:                               ;   in Loop: Header=BB0_12 Depth=1
	s_and_b64 vcc, exec, s[26:27]
	s_cbranch_vccz .LBB0_49
; %bb.48:                               ;   in Loop: Header=BB0_12 Depth=1
	v_mul_lo_u32 v20, v5, s14
	v_mul_lo_u32 v21, v4, s15
	v_mad_u64_u32 v[6:7], s[12:13], v4, s14, 0
	v_add3_u32 v7, v7, v21, v20
	v_lshlrev_b64 v[6:7], 2, v[6:7]
	v_add_co_u32_e32 v6, vcc, v14, v6
	v_addc_co_u32_e32 v7, vcc, v15, v7, vcc
	global_load_dword v20, v[6:7], off
	v_mul_f32_e32 v21, s10, v3
	s_mov_b64 s[12:13], 0
	s_waitcnt vmcnt(0)
	v_fmac_f32_e32 v21, s28, v20
	global_store_dword v[6:7], v21, off
.LBB0_49:                               ;   in Loop: Header=BB0_12 Depth=1
	s_andn2_b64 vcc, exec, s[12:13]
	s_cbranch_vccnz .LBB0_51
; %bb.50:                               ;   in Loop: Header=BB0_12 Depth=1
	v_lshlrev_b64 v[6:7], 2, v[4:5]
	v_add_co_u32_e32 v6, vcc, v16, v6
	v_addc_co_u32_e32 v7, vcc, v17, v7, vcc
	global_load_dword v20, v[6:7], off
	v_mul_f32_e32 v21, s10, v3
	s_waitcnt vmcnt(0)
	v_fmac_f32_e32 v21, s28, v20
	global_store_dword v[6:7], v21, off
.LBB0_51:                               ;   in Loop: Header=BB0_12 Depth=1
	s_mov_b64 s[12:13], 0
.LBB0_52:                               ;   in Loop: Header=BB0_12 Depth=1
	s_andn2_b64 vcc, exec, s[12:13]
	s_cbranch_vccnz .LBB0_11
; %bb.53:                               ;   in Loop: Header=BB0_12 Depth=1
	v_mul_f32_e32 v3, s10, v3
	s_mov_b64 s[12:13], -1
	s_and_b64 vcc, exec, s[26:27]
	s_cbranch_vccz .LBB0_55
; %bb.54:                               ;   in Loop: Header=BB0_12 Depth=1
	v_mul_lo_u32 v20, v5, s14
	v_mul_lo_u32 v21, v4, s15
	v_mad_u64_u32 v[6:7], s[12:13], v4, s14, 0
	v_add3_u32 v7, v7, v21, v20
	v_lshlrev_b64 v[6:7], 2, v[6:7]
	v_add_co_u32_e32 v6, vcc, v14, v6
	v_addc_co_u32_e32 v7, vcc, v15, v7, vcc
	global_store_dword v[6:7], v3, off
	s_mov_b64 s[12:13], 0
.LBB0_55:                               ;   in Loop: Header=BB0_12 Depth=1
	s_andn2_b64 vcc, exec, s[12:13]
	s_cbranch_vccnz .LBB0_11
; %bb.56:                               ;   in Loop: Header=BB0_12 Depth=1
	v_lshlrev_b64 v[4:5], 2, v[4:5]
	v_add_co_u32_e32 v4, vcc, v16, v4
	v_addc_co_u32_e32 v5, vcc, v17, v5, vcc
	global_store_dword v[4:5], v3, off
	s_branch .LBB0_11
.LBB0_57:
	s_endpgm
	.section	.rodata,"a",@progbits
	.p2align	6, 0x0
	.amdhsa_kernel _ZN9rocsparseL29bsrmm_general_blockdim_kernelILj32ELj32EiiffffEEvb20rocsparse_direction_T2_S2_llNS_24const_host_device_scalarIT6_EEPKT1_PKS2_PKT3_S2_PKT4_llS5_PT5_ll16rocsparse_order_21rocsparse_index_base_b
		.amdhsa_group_segment_fixed_size 8192
		.amdhsa_private_segment_fixed_size 0
		.amdhsa_kernarg_size 140
		.amdhsa_user_sgpr_count 6
		.amdhsa_user_sgpr_private_segment_buffer 1
		.amdhsa_user_sgpr_dispatch_ptr 0
		.amdhsa_user_sgpr_queue_ptr 0
		.amdhsa_user_sgpr_kernarg_segment_ptr 1
		.amdhsa_user_sgpr_dispatch_id 0
		.amdhsa_user_sgpr_flat_scratch_init 0
		.amdhsa_user_sgpr_kernarg_preload_length 0
		.amdhsa_user_sgpr_kernarg_preload_offset 0
		.amdhsa_user_sgpr_private_segment_size 0
		.amdhsa_uses_dynamic_stack 0
		.amdhsa_system_sgpr_private_segment_wavefront_offset 0
		.amdhsa_system_sgpr_workgroup_id_x 1
		.amdhsa_system_sgpr_workgroup_id_y 1
		.amdhsa_system_sgpr_workgroup_id_z 0
		.amdhsa_system_sgpr_workgroup_info 0
		.amdhsa_system_vgpr_workitem_id 1
		.amdhsa_next_free_vgpr 42
		.amdhsa_next_free_sgpr 48
		.amdhsa_accum_offset 44
		.amdhsa_reserve_vcc 1
		.amdhsa_reserve_flat_scratch 0
		.amdhsa_float_round_mode_32 0
		.amdhsa_float_round_mode_16_64 0
		.amdhsa_float_denorm_mode_32 3
		.amdhsa_float_denorm_mode_16_64 3
		.amdhsa_dx10_clamp 1
		.amdhsa_ieee_mode 1
		.amdhsa_fp16_overflow 0
		.amdhsa_tg_split 0
		.amdhsa_exception_fp_ieee_invalid_op 0
		.amdhsa_exception_fp_denorm_src 0
		.amdhsa_exception_fp_ieee_div_zero 0
		.amdhsa_exception_fp_ieee_overflow 0
		.amdhsa_exception_fp_ieee_underflow 0
		.amdhsa_exception_fp_ieee_inexact 0
		.amdhsa_exception_int_div_zero 0
	.end_amdhsa_kernel
	.section	.text._ZN9rocsparseL29bsrmm_general_blockdim_kernelILj32ELj32EiiffffEEvb20rocsparse_direction_T2_S2_llNS_24const_host_device_scalarIT6_EEPKT1_PKS2_PKT3_S2_PKT4_llS5_PT5_ll16rocsparse_order_21rocsparse_index_base_b,"axG",@progbits,_ZN9rocsparseL29bsrmm_general_blockdim_kernelILj32ELj32EiiffffEEvb20rocsparse_direction_T2_S2_llNS_24const_host_device_scalarIT6_EEPKT1_PKS2_PKT3_S2_PKT4_llS5_PT5_ll16rocsparse_order_21rocsparse_index_base_b,comdat
.Lfunc_end0:
	.size	_ZN9rocsparseL29bsrmm_general_blockdim_kernelILj32ELj32EiiffffEEvb20rocsparse_direction_T2_S2_llNS_24const_host_device_scalarIT6_EEPKT1_PKS2_PKT3_S2_PKT4_llS5_PT5_ll16rocsparse_order_21rocsparse_index_base_b, .Lfunc_end0-_ZN9rocsparseL29bsrmm_general_blockdim_kernelILj32ELj32EiiffffEEvb20rocsparse_direction_T2_S2_llNS_24const_host_device_scalarIT6_EEPKT1_PKS2_PKT3_S2_PKT4_llS5_PT5_ll16rocsparse_order_21rocsparse_index_base_b
                                        ; -- End function
	.section	.AMDGPU.csdata,"",@progbits
; Kernel info:
; codeLenInByte = 1976
; NumSgprs: 52
; NumVgprs: 42
; NumAgprs: 0
; TotalNumVgprs: 42
; ScratchSize: 0
; MemoryBound: 0
; FloatMode: 240
; IeeeMode: 1
; LDSByteSize: 8192 bytes/workgroup (compile time only)
; SGPRBlocks: 6
; VGPRBlocks: 5
; NumSGPRsForWavesPerEU: 52
; NumVGPRsForWavesPerEU: 42
; AccumOffset: 44
; Occupancy: 8
; WaveLimiterHint : 0
; COMPUTE_PGM_RSRC2:SCRATCH_EN: 0
; COMPUTE_PGM_RSRC2:USER_SGPR: 6
; COMPUTE_PGM_RSRC2:TRAP_HANDLER: 0
; COMPUTE_PGM_RSRC2:TGID_X_EN: 1
; COMPUTE_PGM_RSRC2:TGID_Y_EN: 1
; COMPUTE_PGM_RSRC2:TGID_Z_EN: 0
; COMPUTE_PGM_RSRC2:TIDIG_COMP_CNT: 1
; COMPUTE_PGM_RSRC3_GFX90A:ACCUM_OFFSET: 10
; COMPUTE_PGM_RSRC3_GFX90A:TG_SPLIT: 0
	.section	.text._ZN9rocsparseL29bsrmm_general_blockdim_kernelILj32ELj32EliffffEEvb20rocsparse_direction_T2_S2_llNS_24const_host_device_scalarIT6_EEPKT1_PKS2_PKT3_S2_PKT4_llS5_PT5_ll16rocsparse_order_21rocsparse_index_base_b,"axG",@progbits,_ZN9rocsparseL29bsrmm_general_blockdim_kernelILj32ELj32EliffffEEvb20rocsparse_direction_T2_S2_llNS_24const_host_device_scalarIT6_EEPKT1_PKS2_PKT3_S2_PKT4_llS5_PT5_ll16rocsparse_order_21rocsparse_index_base_b,comdat
	.globl	_ZN9rocsparseL29bsrmm_general_blockdim_kernelILj32ELj32EliffffEEvb20rocsparse_direction_T2_S2_llNS_24const_host_device_scalarIT6_EEPKT1_PKS2_PKT3_S2_PKT4_llS5_PT5_ll16rocsparse_order_21rocsparse_index_base_b ; -- Begin function _ZN9rocsparseL29bsrmm_general_blockdim_kernelILj32ELj32EliffffEEvb20rocsparse_direction_T2_S2_llNS_24const_host_device_scalarIT6_EEPKT1_PKS2_PKT3_S2_PKT4_llS5_PT5_ll16rocsparse_order_21rocsparse_index_base_b
	.p2align	8
	.type	_ZN9rocsparseL29bsrmm_general_blockdim_kernelILj32ELj32EliffffEEvb20rocsparse_direction_T2_S2_llNS_24const_host_device_scalarIT6_EEPKT1_PKS2_PKT3_S2_PKT4_llS5_PT5_ll16rocsparse_order_21rocsparse_index_base_b,@function
_ZN9rocsparseL29bsrmm_general_blockdim_kernelILj32ELj32EliffffEEvb20rocsparse_direction_T2_S2_llNS_24const_host_device_scalarIT6_EEPKT1_PKS2_PKT3_S2_PKT4_llS5_PT5_ll16rocsparse_order_21rocsparse_index_base_b: ; @_ZN9rocsparseL29bsrmm_general_blockdim_kernelILj32ELj32EliffffEEvb20rocsparse_direction_T2_S2_llNS_24const_host_device_scalarIT6_EEPKT1_PKS2_PKT3_S2_PKT4_llS5_PT5_ll16rocsparse_order_21rocsparse_index_base_b
; %bb.0:
	s_load_dwordx4 s[8:11], s[4:5], 0x80
	s_mov_b32 s0, s7
	s_waitcnt lgkmcnt(0)
	s_bitcmp1_b32 s10, 0
	s_load_dwordx2 s[10:11], s[4:5], 0x20
	s_load_dwordx2 s[28:29], s[4:5], 0x60
	s_cselect_b64 s[12:13], -1, 0
	s_xor_b64 s[2:3], s[12:13], -1
	s_and_b64 vcc, exec, s[12:13]
	s_cbranch_vccnz .LBB1_2
; %bb.1:
	s_waitcnt lgkmcnt(0)
	s_load_dword s10, s[10:11], 0x0
.LBB1_2:
	s_andn2_b64 vcc, exec, s[2:3]
	s_cbranch_vccnz .LBB1_4
; %bb.3:
	s_waitcnt lgkmcnt(0)
	s_load_dword s28, s[28:29], 0x0
.LBB1_4:
	s_waitcnt lgkmcnt(0)
	v_cmp_eq_f32_e64 s[2:3], s10, 0
	v_cmp_eq_f32_e64 s[12:13], s28, 1.0
	s_and_b64 s[2:3], s[2:3], s[12:13]
	s_and_b64 vcc, exec, s[2:3]
	s_cbranch_vccnz .LBB1_53
; %bb.5:
	s_load_dwordx4 s[24:27], s[4:5], 0x0
	s_load_dwordx2 s[12:13], s[4:5], 0x28
	s_mov_b64 s[30:31], 0
	s_mov_b64 s[34:35], 0
	s_waitcnt lgkmcnt(0)
	s_cmp_lt_i32 s6, s26
	s_cselect_b64 s[2:3], -1, 0
	s_cmp_ge_i32 s6, s26
	s_cbranch_scc0 .LBB1_8
; %bb.6:
	s_andn2_b64 vcc, exec, s[2:3]
	s_cbranch_vccz .LBB1_9
.LBB1_7:
	s_load_dword s11, s[4:5], 0x40
	s_waitcnt lgkmcnt(0)
	s_cmp_lt_i32 s11, 1
	s_cbranch_scc0 .LBB1_10
	s_branch .LBB1_53
.LBB1_8:
	s_ashr_i32 s7, s6, 31
	s_lshl_b64 s[14:15], s[6:7], 3
	s_add_u32 s14, s12, s14
	s_addc_u32 s15, s13, s15
	s_load_dwordx2 s[14:15], s[14:15], 0x0
	s_waitcnt lgkmcnt(0)
	s_sub_u32 s34, s14, s9
	s_subb_u32 s35, s15, 0
	s_andn2_b64 vcc, exec, s[2:3]
	s_cbranch_vccnz .LBB1_7
.LBB1_9:
	s_ashr_i32 s7, s6, 31
	s_lshl_b64 s[14:15], s[6:7], 3
	s_add_u32 s12, s12, s14
	s_addc_u32 s13, s13, s15
	s_load_dwordx2 s[12:13], s[12:13], 0x8
	s_waitcnt lgkmcnt(0)
	s_sub_u32 s30, s12, s9
	s_subb_u32 s31, s13, 0
	s_load_dword s11, s[4:5], 0x40
	s_waitcnt lgkmcnt(0)
	s_cmp_lt_i32 s11, 1
	s_cbranch_scc1 .LBB1_53
.LBB1_10:
	s_load_dwordx4 s[12:15], s[4:5], 0x68
	s_load_dwordx4 s[16:19], s[4:5], 0x30
	;; [unrolled: 1-line block ×3, first 2 shown]
	v_bfe_u32 v5, v0, 10, 10
	v_and_b32_e32 v4, 0x3ff, v0
	s_bitcmp1_b32 s24, 0
	v_lshl_add_u32 v0, s0, 5, v5
	s_cselect_b64 s[4:5], -1, 0
	v_ashrrev_i32_e32 v1, 31, v0
	s_xor_b64 s[36:37], s[4:5], -1
	v_lshlrev_b64 v[12:13], 2, v[0:1]
	s_waitcnt lgkmcnt(0)
	v_mul_lo_u32 v15, v1, s22
	v_mul_lo_u32 v16, v0, s23
	v_mad_u64_u32 v[10:11], s[4:5], v0, s22, 0
	v_mov_b32_e32 v14, s21
	v_add_co_u32_e32 v6, vcc, s20, v12
	v_add3_u32 v11, v11, v16, v15
	v_addc_co_u32_e32 v7, vcc, v14, v13, vcc
	v_lshlrev_b64 v[10:11], 2, v[10:11]
	v_cmp_gt_i32_e64 s[0:1], s27, v0
	v_add_co_u32_e32 v10, vcc, s20, v10
	s_cmp_lg_u32 s25, 0
	s_mul_i32 s29, s6, s11
	v_addc_co_u32_e32 v11, vcc, v14, v11, vcc
	s_cselect_b64 s[6:7], -1, 0
	s_and_b64 s[20:21], s[2:3], s[0:1]
	v_mul_lo_u32 v14, v1, s14
	v_mul_lo_u32 v16, v0, s15
	v_mad_u64_u32 v[0:1], s[2:3], v0, s14, 0
	v_mov_b32_e32 v15, s13
	v_add_co_u32_e32 v12, vcc, s12, v12
	v_add3_u32 v1, v1, v16, v14
	v_addc_co_u32_e32 v13, vcc, v15, v13, vcc
	v_lshlrev_b64 v[0:1], 2, v[0:1]
	v_add_co_u32_e32 v14, vcc, s12, v0
	v_pk_mov_b32 v[2:3], s[30:31], s[30:31] op_sel:[0,1]
	v_addc_co_u32_e32 v15, vcc, v15, v1, vcc
	v_lshlrev_b32_e32 v8, 5, v5
	v_mov_b32_e32 v0, 0x1000
	v_cmp_lt_i64_e32 vcc, s[34:35], v[2:3]
	v_add_lshl_u32 v8, v8, v4, 2
	s_cmp_lg_u32 s8, 1
	v_lshl_add_u32 v17, v5, 7, v0
	v_cndmask_b32_e64 v0, 0, 1, vcc
	v_add_u32_e32 v9, 0x1000, v8
	s_mov_b32 s33, 0
	s_mul_i32 s46, s11, s11
	v_cmp_neq_f32_e64 s[24:25], s28, 0
	s_cselect_b64 s[26:27], -1, 0
	v_lshlrev_b32_e32 v16, 2, v4
	v_cmp_ne_u32_e64 s[2:3], 1, v0
	s_branch .LBB1_12
.LBB1_11:                               ;   in Loop: Header=BB1_12 Depth=1
	s_or_b64 exec, exec, s[4:5]
	s_add_i32 s33, s33, 32
	s_cmp_lt_i32 s33, s11
	s_cbranch_scc0 .LBB1_53
.LBB1_12:                               ; =>This Loop Header: Depth=1
                                        ;     Child Loop BB1_15 Depth 2
                                        ;       Child Loop BB1_17 Depth 3
	v_add_u32_e32 v19, s33, v4
	s_and_b64 vcc, exec, s[2:3]
	v_mov_b32_e32 v18, 0
	v_cmp_gt_i32_e64 s[4:5], s11, v19
	s_cbranch_vccnz .LBB1_41
; %bb.13:                               ;   in Loop: Header=BB1_12 Depth=1
	v_mul_lo_u32 v20, v19, s11
	v_mov_b32_e32 v18, 0
	s_mov_b64 s[12:13], s[34:35]
	s_branch .LBB1_15
.LBB1_14:                               ;   in Loop: Header=BB1_15 Depth=2
	s_add_u32 s12, s12, 1
	s_addc_u32 s13, s13, 0
	v_pk_mov_b32 v[0:1], s[30:31], s[30:31] op_sel:[0,1]
	v_cmp_ge_i64_e32 vcc, s[12:13], v[0:1]
	s_cbranch_vccnz .LBB1_41
.LBB1_15:                               ;   Parent Loop BB1_12 Depth=1
                                        ; =>  This Loop Header: Depth=2
                                        ;       Child Loop BB1_17 Depth 3
	s_lshl_b64 s[38:39], s[12:13], 2
	s_add_u32 s38, s16, s38
	s_addc_u32 s39, s17, s39
	s_load_dword s8, s[38:39], 0x0
	s_mul_i32 s39, s13, s46
	s_mul_hi_u32 s40, s12, s46
	s_mul_i32 s38, s12, s46
	s_add_i32 s39, s40, s39
	s_waitcnt lgkmcnt(0)
	s_sub_i32 s8, s8, s9
	s_lshl_b64 s[38:39], s[38:39], 2
	s_mul_i32 s40, s8, s11
	s_add_u32 s8, s18, s38
	s_addc_u32 s47, s19, s39
	v_add_u32_e32 v21, s40, v4
	s_mov_b32 s48, 0
	s_branch .LBB1_17
.LBB1_16:                               ;   in Loop: Header=BB1_17 Depth=3
	s_or_b64 exec, exec, s[38:39]
	s_waitcnt vmcnt(0)
	ds_write_b32 v8, v1
	s_waitcnt lgkmcnt(0)
	s_barrier
	ds_read2_b32 v[34:35], v16 offset1:32
	ds_read_b128 v[0:3], v17
	ds_read_b128 v[22:25], v17 offset:16
	ds_read2_b32 v[36:37], v16 offset0:64 offset1:96
	ds_read_b128 v[26:29], v17 offset:32
	ds_read_b128 v[30:33], v17 offset:48
	ds_read2_b32 v[38:39], v16 offset0:128 offset1:160
	s_waitcnt lgkmcnt(5)
	v_fmac_f32_e32 v18, v34, v0
	v_fmac_f32_e32 v18, v35, v1
	ds_read2_b32 v[0:1], v16 offset0:192 offset1:224
	s_waitcnt lgkmcnt(4)
	v_fmac_f32_e32 v18, v36, v2
	v_fmac_f32_e32 v18, v37, v3
	s_waitcnt lgkmcnt(1)
	v_fmac_f32_e32 v18, v38, v22
	v_add_u32_e32 v34, 0x400, v16
	ds_read2_b32 v[2:3], v34 offset1:32
	v_fmac_f32_e32 v18, v39, v23
	s_waitcnt lgkmcnt(1)
	v_fmac_f32_e32 v18, v0, v24
	v_fmac_f32_e32 v18, v1, v25
	ds_read2_b32 v[0:1], v34 offset0:64 offset1:96
	ds_read2_b32 v[22:23], v34 offset0:128 offset1:160
	s_waitcnt lgkmcnt(2)
	v_fmac_f32_e32 v18, v2, v26
	v_fmac_f32_e32 v18, v3, v27
	ds_read2_b32 v[24:25], v34 offset0:192 offset1:224
	s_waitcnt lgkmcnt(2)
	v_fmac_f32_e32 v18, v0, v28
	v_fmac_f32_e32 v18, v1, v29
	s_waitcnt lgkmcnt(1)
	v_fmac_f32_e32 v18, v22, v30
	v_fmac_f32_e32 v18, v23, v31
	s_waitcnt lgkmcnt(0)
	v_fmac_f32_e32 v18, v24, v32
	v_add_u32_e32 v32, 0x800, v16
	ds_read2_b32 v[26:27], v32 offset1:32
	ds_read_b128 v[0:3], v17 offset:64
	v_fmac_f32_e32 v18, v25, v33
	ds_read2_b32 v[28:29], v32 offset0:64 offset1:96
	ds_read2_b32 v[30:31], v32 offset0:128 offset1:160
	ds_read_b128 v[22:25], v17 offset:80
	s_add_i32 s48, s48, 32
	s_cmp_ge_i32 s48, s11
	s_waitcnt lgkmcnt(3)
	v_fmac_f32_e32 v18, v26, v0
	v_fmac_f32_e32 v18, v27, v1
	ds_read2_b32 v[26:27], v32 offset0:192 offset1:224
	s_waitcnt lgkmcnt(3)
	v_fmac_f32_e32 v18, v28, v2
	v_fmac_f32_e32 v18, v29, v3
	v_add_u32_e32 v32, 0xc00, v16
	s_waitcnt lgkmcnt(1)
	v_fmac_f32_e32 v18, v30, v22
	ds_read2_b32 v[28:29], v32 offset1:32
	ds_read_b128 v[0:3], v17 offset:96
	v_fmac_f32_e32 v18, v31, v23
	s_waitcnt lgkmcnt(2)
	v_fmac_f32_e32 v18, v26, v24
	v_fmac_f32_e32 v18, v27, v25
	ds_read2_b32 v[26:27], v32 offset0:64 offset1:96
	ds_read_b128 v[22:25], v17 offset:112
	ds_read2_b32 v[30:31], v32 offset0:128 offset1:160
	s_waitcnt lgkmcnt(3)
	v_fmac_f32_e32 v18, v28, v0
	v_fmac_f32_e32 v18, v29, v1
	ds_read2_b32 v[0:1], v32 offset0:192 offset1:224
	s_waitcnt lgkmcnt(3)
	v_fmac_f32_e32 v18, v26, v2
	v_fmac_f32_e32 v18, v27, v3
	s_waitcnt lgkmcnt(1)
	v_fmac_f32_e32 v18, v30, v22
	v_fmac_f32_e32 v18, v31, v23
	;; [unrolled: 3-line block ×3, first 2 shown]
	s_barrier
	s_cbranch_scc1 .LBB1_14
.LBB1_17:                               ;   Parent Loop BB1_12 Depth=1
                                        ;     Parent Loop BB1_15 Depth=2
                                        ; =>    This Inner Loop Header: Depth=3
	s_and_b64 vcc, exec, s[36:37]
	s_cbranch_vccz .LBB1_23
; %bb.18:                               ;   in Loop: Header=BB1_17 Depth=3
	s_mov_b64 s[40:41], 0
	s_mov_b64 s[38:39], 0
                                        ; implicit-def: $vgpr0_vgpr1
	s_and_saveexec_b64 s[42:43], s[0:1]
	s_cbranch_execz .LBB1_22
; %bb.19:                               ;   in Loop: Header=BB1_17 Depth=3
	v_add_u32_e32 v0, s48, v4
	v_cmp_gt_i32_e32 vcc, s11, v0
                                        ; implicit-def: $vgpr0_vgpr1
	s_and_saveexec_b64 s[44:45], vcc
	s_xor_b64 s[44:45], exec, s[44:45]
; %bb.20:                               ;   in Loop: Header=BB1_17 Depth=3
	v_add_u32_e32 v0, s48, v21
	v_ashrrev_i32_e32 v1, 31, v0
	v_mul_lo_u32 v2, v1, s22
	v_mul_lo_u32 v3, v0, s23
	v_mad_u64_u32 v[0:1], s[50:51], v0, s22, 0
	v_add3_u32 v1, v1, v3, v2
	v_lshlrev_b64 v[0:1], 2, v[0:1]
	v_add_co_u32_e32 v0, vcc, v6, v0
	s_mov_b64 s[38:39], exec
	v_addc_co_u32_e32 v1, vcc, v7, v1, vcc
; %bb.21:                               ;   in Loop: Header=BB1_17 Depth=3
	s_or_b64 exec, exec, s[44:45]
	s_and_b64 s[38:39], s[38:39], exec
.LBB1_22:                               ;   in Loop: Header=BB1_17 Depth=3
	s_or_b64 exec, exec, s[42:43]
	s_mov_b32 s42, 0
	s_and_b64 vcc, exec, s[40:41]
	s_cbranch_vccnz .LBB1_24
	s_branch .LBB1_29
.LBB1_23:                               ;   in Loop: Header=BB1_17 Depth=3
	s_mov_b64 s[38:39], 0
                                        ; implicit-def: $vgpr0_vgpr1
                                        ; implicit-def: $sgpr42
	s_cbranch_execz .LBB1_29
.LBB1_24:                               ;   in Loop: Header=BB1_17 Depth=3
                                        ; implicit-def: $vgpr0_vgpr1
	s_and_saveexec_b64 s[40:41], s[0:1]
	s_cbranch_execz .LBB1_28
; %bb.25:                               ;   in Loop: Header=BB1_17 Depth=3
	v_add_u32_e32 v0, s48, v4
	v_cmp_gt_i32_e32 vcc, s11, v0
	s_mov_b64 s[44:45], s[38:39]
                                        ; implicit-def: $vgpr0_vgpr1
	s_and_saveexec_b64 s[42:43], vcc
; %bb.26:                               ;   in Loop: Header=BB1_17 Depth=3
	v_add_u32_e32 v0, s48, v21
	v_ashrrev_i32_e32 v1, 31, v0
	v_lshlrev_b64 v[0:1], 2, v[0:1]
	v_add_co_u32_e32 v0, vcc, v10, v0
	v_addc_co_u32_e32 v1, vcc, v11, v1, vcc
	s_or_b64 s[44:45], s[38:39], exec
; %bb.27:                               ;   in Loop: Header=BB1_17 Depth=3
	s_or_b64 exec, exec, s[42:43]
	s_andn2_b64 s[38:39], s[38:39], exec
	s_and_b64 s[42:43], s[44:45], exec
	s_or_b64 s[38:39], s[38:39], s[42:43]
.LBB1_28:                               ;   in Loop: Header=BB1_17 Depth=3
	s_or_b64 exec, exec, s[40:41]
	s_mov_b32 s42, 0
.LBB1_29:                               ;   in Loop: Header=BB1_17 Depth=3
	v_mov_b32_e32 v2, s42
	s_and_saveexec_b64 s[40:41], s[38:39]
	s_cbranch_execnz .LBB1_39
; %bb.30:                               ;   in Loop: Header=BB1_17 Depth=3
	s_or_b64 exec, exec, s[40:41]
	s_and_b64 vcc, exec, s[6:7]
	ds_write_b32 v9, v2
	s_cbranch_vccz .LBB1_40
.LBB1_31:                               ;   in Loop: Header=BB1_17 Depth=3
	s_mov_b64 s[38:39], 0
	s_mov_b64 s[40:41], 0
                                        ; implicit-def: $vgpr0
	s_and_saveexec_b64 s[42:43], s[4:5]
	s_cbranch_execz .LBB1_35
; %bb.32:                               ;   in Loop: Header=BB1_17 Depth=3
	v_add_u32_e32 v1, s48, v5
	v_cmp_gt_i32_e32 vcc, s11, v1
                                        ; implicit-def: $vgpr0
	s_and_saveexec_b64 s[44:45], vcc
	s_xor_b64 s[44:45], exec, s[44:45]
; %bb.33:                               ;   in Loop: Header=BB1_17 Depth=3
	s_mov_b64 s[40:41], exec
	v_mul_lo_u32 v0, v1, s11
; %bb.34:                               ;   in Loop: Header=BB1_17 Depth=3
	s_or_b64 exec, exec, s[44:45]
	s_and_b64 s[40:41], s[40:41], exec
.LBB1_35:                               ;   in Loop: Header=BB1_17 Depth=3
	s_or_b64 exec, exec, s[42:43]
	s_mov_b32 s42, 0
	v_mov_b32_e32 v2, v19
	s_and_b64 vcc, exec, s[38:39]
	s_cbranch_vccz .LBB1_37
.LBB1_36:                               ;   in Loop: Header=BB1_17 Depth=3
	v_add_u32_e32 v0, s48, v5
	v_cmp_gt_i32_e32 vcc, s11, v0
	s_and_b64 s[38:39], s[4:5], vcc
	s_andn2_b64 s[40:41], s[40:41], exec
	s_and_b64 s[38:39], s[38:39], exec
	s_mov_b32 s42, 0
	s_or_b64 s[40:41], s[40:41], s[38:39]
	v_mov_b32_e32 v2, v20
.LBB1_37:                               ;   in Loop: Header=BB1_17 Depth=3
	v_mov_b32_e32 v1, s42
	s_and_saveexec_b64 s[38:39], s[40:41]
	s_cbranch_execz .LBB1_16
; %bb.38:                               ;   in Loop: Header=BB1_17 Depth=3
	v_ashrrev_i32_e32 v3, 31, v2
	v_lshlrev_b64 v[2:3], 2, v[2:3]
	v_mov_b32_e32 v1, s47
	v_add_co_u32_e32 v2, vcc, s8, v2
	v_addc_co_u32_e32 v3, vcc, v1, v3, vcc
	v_ashrrev_i32_e32 v1, 31, v0
	v_lshlrev_b64 v[0:1], 2, v[0:1]
	v_add_co_u32_e32 v0, vcc, v2, v0
	v_addc_co_u32_e32 v1, vcc, v3, v1, vcc
	global_load_dword v1, v[0:1], off
	s_branch .LBB1_16
.LBB1_39:                               ;   in Loop: Header=BB1_17 Depth=3
	global_load_dword v2, v[0:1], off
	s_or_b64 exec, exec, s[40:41]
	s_and_b64 vcc, exec, s[6:7]
	s_waitcnt vmcnt(0)
	ds_write_b32 v9, v2
	s_cbranch_vccnz .LBB1_31
.LBB1_40:                               ;   in Loop: Header=BB1_17 Depth=3
	s_mov_b64 s[40:41], 0
                                        ; implicit-def: $vgpr2
                                        ; implicit-def: $vgpr0
                                        ; implicit-def: $sgpr42
	s_cbranch_execnz .LBB1_36
	s_branch .LBB1_37
.LBB1_41:                               ;   in Loop: Header=BB1_12 Depth=1
	v_cmp_gt_i32_e32 vcc, s11, v19
	s_and_b64 s[12:13], s[20:21], vcc
	s_and_saveexec_b64 s[4:5], s[12:13]
	s_cbranch_execz .LBB1_11
; %bb.42:                               ;   in Loop: Header=BB1_12 Depth=1
	v_add_u32_e32 v0, s29, v19
	s_and_b64 vcc, exec, s[24:25]
	v_ashrrev_i32_e32 v1, 31, v0
	s_mov_b64 s[12:13], -1
	s_cbranch_vccz .LBB1_48
; %bb.43:                               ;   in Loop: Header=BB1_12 Depth=1
	s_and_b64 vcc, exec, s[26:27]
	s_cbranch_vccz .LBB1_45
; %bb.44:                               ;   in Loop: Header=BB1_12 Depth=1
	v_mul_lo_u32 v19, v1, s14
	v_mul_lo_u32 v20, v0, s15
	v_mad_u64_u32 v[2:3], s[12:13], v0, s14, 0
	v_add3_u32 v3, v3, v20, v19
	v_lshlrev_b64 v[2:3], 2, v[2:3]
	v_add_co_u32_e32 v2, vcc, v12, v2
	v_addc_co_u32_e32 v3, vcc, v13, v3, vcc
	global_load_dword v19, v[2:3], off
	v_mul_f32_e32 v20, s10, v18
	s_mov_b64 s[12:13], 0
	s_waitcnt vmcnt(0)
	v_fmac_f32_e32 v20, s28, v19
	global_store_dword v[2:3], v20, off
.LBB1_45:                               ;   in Loop: Header=BB1_12 Depth=1
	s_andn2_b64 vcc, exec, s[12:13]
	s_cbranch_vccnz .LBB1_47
; %bb.46:                               ;   in Loop: Header=BB1_12 Depth=1
	v_lshlrev_b64 v[2:3], 2, v[0:1]
	v_add_co_u32_e32 v2, vcc, v14, v2
	v_addc_co_u32_e32 v3, vcc, v15, v3, vcc
	global_load_dword v19, v[2:3], off
	v_mul_f32_e32 v20, s10, v18
	s_waitcnt vmcnt(0)
	v_fmac_f32_e32 v20, s28, v19
	global_store_dword v[2:3], v20, off
.LBB1_47:                               ;   in Loop: Header=BB1_12 Depth=1
	s_mov_b64 s[12:13], 0
.LBB1_48:                               ;   in Loop: Header=BB1_12 Depth=1
	s_andn2_b64 vcc, exec, s[12:13]
	s_cbranch_vccnz .LBB1_11
; %bb.49:                               ;   in Loop: Header=BB1_12 Depth=1
	v_mul_f32_e32 v2, s10, v18
	s_mov_b64 s[12:13], -1
	s_and_b64 vcc, exec, s[26:27]
	s_cbranch_vccz .LBB1_51
; %bb.50:                               ;   in Loop: Header=BB1_12 Depth=1
	v_mul_lo_u32 v3, v1, s14
	v_mul_lo_u32 v20, v0, s15
	v_mad_u64_u32 v[18:19], s[12:13], v0, s14, 0
	v_add3_u32 v19, v19, v20, v3
	v_lshlrev_b64 v[18:19], 2, v[18:19]
	v_add_co_u32_e32 v18, vcc, v12, v18
	v_addc_co_u32_e32 v19, vcc, v13, v19, vcc
	global_store_dword v[18:19], v2, off
	s_mov_b64 s[12:13], 0
.LBB1_51:                               ;   in Loop: Header=BB1_12 Depth=1
	s_andn2_b64 vcc, exec, s[12:13]
	s_cbranch_vccnz .LBB1_11
; %bb.52:                               ;   in Loop: Header=BB1_12 Depth=1
	v_lshlrev_b64 v[0:1], 2, v[0:1]
	v_add_co_u32_e32 v0, vcc, v14, v0
	v_addc_co_u32_e32 v1, vcc, v15, v1, vcc
	global_store_dword v[0:1], v2, off
	s_branch .LBB1_11
.LBB1_53:
	s_endpgm
	.section	.rodata,"a",@progbits
	.p2align	6, 0x0
	.amdhsa_kernel _ZN9rocsparseL29bsrmm_general_blockdim_kernelILj32ELj32EliffffEEvb20rocsparse_direction_T2_S2_llNS_24const_host_device_scalarIT6_EEPKT1_PKS2_PKT3_S2_PKT4_llS5_PT5_ll16rocsparse_order_21rocsparse_index_base_b
		.amdhsa_group_segment_fixed_size 8192
		.amdhsa_private_segment_fixed_size 0
		.amdhsa_kernarg_size 140
		.amdhsa_user_sgpr_count 6
		.amdhsa_user_sgpr_private_segment_buffer 1
		.amdhsa_user_sgpr_dispatch_ptr 0
		.amdhsa_user_sgpr_queue_ptr 0
		.amdhsa_user_sgpr_kernarg_segment_ptr 1
		.amdhsa_user_sgpr_dispatch_id 0
		.amdhsa_user_sgpr_flat_scratch_init 0
		.amdhsa_user_sgpr_kernarg_preload_length 0
		.amdhsa_user_sgpr_kernarg_preload_offset 0
		.amdhsa_user_sgpr_private_segment_size 0
		.amdhsa_uses_dynamic_stack 0
		.amdhsa_system_sgpr_private_segment_wavefront_offset 0
		.amdhsa_system_sgpr_workgroup_id_x 1
		.amdhsa_system_sgpr_workgroup_id_y 1
		.amdhsa_system_sgpr_workgroup_id_z 0
		.amdhsa_system_sgpr_workgroup_info 0
		.amdhsa_system_vgpr_workitem_id 1
		.amdhsa_next_free_vgpr 40
		.amdhsa_next_free_sgpr 52
		.amdhsa_accum_offset 40
		.amdhsa_reserve_vcc 1
		.amdhsa_reserve_flat_scratch 0
		.amdhsa_float_round_mode_32 0
		.amdhsa_float_round_mode_16_64 0
		.amdhsa_float_denorm_mode_32 3
		.amdhsa_float_denorm_mode_16_64 3
		.amdhsa_dx10_clamp 1
		.amdhsa_ieee_mode 1
		.amdhsa_fp16_overflow 0
		.amdhsa_tg_split 0
		.amdhsa_exception_fp_ieee_invalid_op 0
		.amdhsa_exception_fp_denorm_src 0
		.amdhsa_exception_fp_ieee_div_zero 0
		.amdhsa_exception_fp_ieee_overflow 0
		.amdhsa_exception_fp_ieee_underflow 0
		.amdhsa_exception_fp_ieee_inexact 0
		.amdhsa_exception_int_div_zero 0
	.end_amdhsa_kernel
	.section	.text._ZN9rocsparseL29bsrmm_general_blockdim_kernelILj32ELj32EliffffEEvb20rocsparse_direction_T2_S2_llNS_24const_host_device_scalarIT6_EEPKT1_PKS2_PKT3_S2_PKT4_llS5_PT5_ll16rocsparse_order_21rocsparse_index_base_b,"axG",@progbits,_ZN9rocsparseL29bsrmm_general_blockdim_kernelILj32ELj32EliffffEEvb20rocsparse_direction_T2_S2_llNS_24const_host_device_scalarIT6_EEPKT1_PKS2_PKT3_S2_PKT4_llS5_PT5_ll16rocsparse_order_21rocsparse_index_base_b,comdat
.Lfunc_end1:
	.size	_ZN9rocsparseL29bsrmm_general_blockdim_kernelILj32ELj32EliffffEEvb20rocsparse_direction_T2_S2_llNS_24const_host_device_scalarIT6_EEPKT1_PKS2_PKT3_S2_PKT4_llS5_PT5_ll16rocsparse_order_21rocsparse_index_base_b, .Lfunc_end1-_ZN9rocsparseL29bsrmm_general_blockdim_kernelILj32ELj32EliffffEEvb20rocsparse_direction_T2_S2_llNS_24const_host_device_scalarIT6_EEPKT1_PKS2_PKT3_S2_PKT4_llS5_PT5_ll16rocsparse_order_21rocsparse_index_base_b
                                        ; -- End function
	.section	.AMDGPU.csdata,"",@progbits
; Kernel info:
; codeLenInByte = 1976
; NumSgprs: 56
; NumVgprs: 40
; NumAgprs: 0
; TotalNumVgprs: 40
; ScratchSize: 0
; MemoryBound: 0
; FloatMode: 240
; IeeeMode: 1
; LDSByteSize: 8192 bytes/workgroup (compile time only)
; SGPRBlocks: 6
; VGPRBlocks: 4
; NumSGPRsForWavesPerEU: 56
; NumVGPRsForWavesPerEU: 40
; AccumOffset: 40
; Occupancy: 8
; WaveLimiterHint : 0
; COMPUTE_PGM_RSRC2:SCRATCH_EN: 0
; COMPUTE_PGM_RSRC2:USER_SGPR: 6
; COMPUTE_PGM_RSRC2:TRAP_HANDLER: 0
; COMPUTE_PGM_RSRC2:TGID_X_EN: 1
; COMPUTE_PGM_RSRC2:TGID_Y_EN: 1
; COMPUTE_PGM_RSRC2:TGID_Z_EN: 0
; COMPUTE_PGM_RSRC2:TIDIG_COMP_CNT: 1
; COMPUTE_PGM_RSRC3_GFX90A:ACCUM_OFFSET: 9
; COMPUTE_PGM_RSRC3_GFX90A:TG_SPLIT: 0
	.section	.text._ZN9rocsparseL29bsrmm_general_blockdim_kernelILj32ELj32EllffffEEvb20rocsparse_direction_T2_S2_llNS_24const_host_device_scalarIT6_EEPKT1_PKS2_PKT3_S2_PKT4_llS5_PT5_ll16rocsparse_order_21rocsparse_index_base_b,"axG",@progbits,_ZN9rocsparseL29bsrmm_general_blockdim_kernelILj32ELj32EllffffEEvb20rocsparse_direction_T2_S2_llNS_24const_host_device_scalarIT6_EEPKT1_PKS2_PKT3_S2_PKT4_llS5_PT5_ll16rocsparse_order_21rocsparse_index_base_b,comdat
	.globl	_ZN9rocsparseL29bsrmm_general_blockdim_kernelILj32ELj32EllffffEEvb20rocsparse_direction_T2_S2_llNS_24const_host_device_scalarIT6_EEPKT1_PKS2_PKT3_S2_PKT4_llS5_PT5_ll16rocsparse_order_21rocsparse_index_base_b ; -- Begin function _ZN9rocsparseL29bsrmm_general_blockdim_kernelILj32ELj32EllffffEEvb20rocsparse_direction_T2_S2_llNS_24const_host_device_scalarIT6_EEPKT1_PKS2_PKT3_S2_PKT4_llS5_PT5_ll16rocsparse_order_21rocsparse_index_base_b
	.p2align	8
	.type	_ZN9rocsparseL29bsrmm_general_blockdim_kernelILj32ELj32EllffffEEvb20rocsparse_direction_T2_S2_llNS_24const_host_device_scalarIT6_EEPKT1_PKS2_PKT3_S2_PKT4_llS5_PT5_ll16rocsparse_order_21rocsparse_index_base_b,@function
_ZN9rocsparseL29bsrmm_general_blockdim_kernelILj32ELj32EllffffEEvb20rocsparse_direction_T2_S2_llNS_24const_host_device_scalarIT6_EEPKT1_PKS2_PKT3_S2_PKT4_llS5_PT5_ll16rocsparse_order_21rocsparse_index_base_b: ; @_ZN9rocsparseL29bsrmm_general_blockdim_kernelILj32ELj32EllffffEEvb20rocsparse_direction_T2_S2_llNS_24const_host_device_scalarIT6_EEPKT1_PKS2_PKT3_S2_PKT4_llS5_PT5_ll16rocsparse_order_21rocsparse_index_base_b
; %bb.0:
	s_load_dwordx4 s[20:23], s[4:5], 0x88
	s_mov_b32 s0, s7
	s_waitcnt lgkmcnt(0)
	s_bitcmp1_b32 s22, 0
	s_load_dwordx2 s[22:23], s[4:5], 0x28
	s_load_dwordx2 s[28:29], s[4:5], 0x68
	s_cselect_b64 s[8:9], -1, 0
	s_xor_b64 s[2:3], s[8:9], -1
	s_and_b64 vcc, exec, s[8:9]
	s_cbranch_vccnz .LBB2_2
; %bb.1:
	s_waitcnt lgkmcnt(0)
	s_load_dword s22, s[22:23], 0x0
.LBB2_2:
	s_andn2_b64 vcc, exec, s[2:3]
	s_cbranch_vccnz .LBB2_4
; %bb.3:
	s_waitcnt lgkmcnt(0)
	s_load_dword s28, s[28:29], 0x0
.LBB2_4:
	s_waitcnt lgkmcnt(0)
	v_cmp_eq_f32_e64 s[2:3], s22, 0
	v_cmp_eq_f32_e64 s[8:9], s28, 1.0
	s_and_b64 s[2:3], s[2:3], s[8:9]
	s_and_b64 vcc, exec, s[2:3]
	s_cbranch_vccnz .LBB2_53
; %bb.5:
	s_load_dwordx4 s[24:27], s[4:5], 0x8
	s_load_dwordx2 s[8:9], s[4:5], 0x30
	s_ashr_i32 s7, s6, 31
	s_mov_b64 s[30:31], 0
	s_waitcnt lgkmcnt(0)
	v_pk_mov_b32 v[2:3], s[24:25], s[24:25] op_sel:[0,1]
	v_cmp_ge_i64_e32 vcc, s[6:7], v[2:3]
	v_cmp_lt_i64_e64 s[2:3], s[6:7], v[2:3]
	s_mov_b64 s[24:25], 0
	s_cbranch_vccz .LBB2_8
; %bb.6:
	s_andn2_b64 vcc, exec, s[2:3]
	s_cbranch_vccz .LBB2_9
.LBB2_7:
	s_load_dwordx2 s[34:35], s[4:5], 0x48
	s_waitcnt lgkmcnt(0)
	v_cmp_lt_i64_e64 s[8:9], s[34:35], 1
	s_and_b64 vcc, exec, s[8:9]
	s_cbranch_vccz .LBB2_10
	s_branch .LBB2_53
.LBB2_8:
	s_lshl_b64 s[10:11], s[6:7], 3
	s_add_u32 s10, s8, s10
	s_addc_u32 s11, s9, s11
	s_load_dwordx2 s[10:11], s[10:11], 0x0
	s_waitcnt lgkmcnt(0)
	s_sub_u32 s24, s10, s21
	s_subb_u32 s25, s11, 0
	s_andn2_b64 vcc, exec, s[2:3]
	s_cbranch_vccnz .LBB2_7
.LBB2_9:
	s_lshl_b64 s[10:11], s[6:7], 3
	s_add_u32 s8, s8, s10
	s_addc_u32 s9, s9, s11
	s_load_dwordx2 s[8:9], s[8:9], 0x8
	s_waitcnt lgkmcnt(0)
	s_sub_u32 s30, s8, s21
	s_subb_u32 s31, s9, 0
	s_load_dwordx2 s[34:35], s[4:5], 0x48
	s_waitcnt lgkmcnt(0)
	v_cmp_lt_i64_e64 s[8:9], s[34:35], 1
	s_and_b64 vcc, exec, s[8:9]
	s_cbranch_vccnz .LBB2_53
.LBB2_10:
	s_load_dwordx4 s[8:11], s[4:5], 0x70
	s_load_dwordx4 s[12:15], s[4:5], 0x50
	;; [unrolled: 1-line block ×3, first 2 shown]
	s_load_dwordx2 s[38:39], s[4:5], 0x0
	v_bfe_u32 v2, v0, 10, 10
	v_lshl_add_u32 v6, s0, 5, v2
	v_mov_b32_e32 v7, 0
	v_lshlrev_b64 v[4:5], 2, v[6:7]
	s_waitcnt lgkmcnt(0)
	s_bitcmp1_b32 s38, 0
	s_cselect_b64 s[0:1], -1, 0
	s_xor_b64 s[36:37], s[0:1], -1
	s_mul_i32 s0, s6, s35
	s_mul_hi_u32 s1, s6, s34
	s_add_i32 s23, s1, s0
	s_mul_i32 s0, s34, s35
	s_mul_hi_u32 s1, s34, s34
	v_mov_b32_e32 v12, s9
	v_add_co_u32_e32 v1, vcc, s8, v4
	s_add_i32 s1, s1, s0
	v_addc_co_u32_e32 v3, vcc, v12, v5, vcc
	s_add_i32 s7, s1, s0
	v_and_b32_e32 v0, 0x3ff, v0
	v_mov_b32_e32 v13, s13
	v_add_co_u32_e32 v20, vcc, s12, v4
	v_cmp_gt_i64_e64 s[0:1], s[26:27], v[6:7]
	v_lshlrev_b32_e32 v4, 5, v2
	s_cmp_lg_u32 s39, 0
	v_addc_co_u32_e32 v21, vcc, v13, v5, vcc
	v_add_lshl_u32 v22, v4, v0, 2
	s_cselect_b64 s[26:27], -1, 0
	s_and_b64 s[38:39], s[2:3], s[0:1]
	v_mad_u64_u32 v[4:5], s[2:3], v6, s10, 0
	v_mov_b32_e32 v10, v5
	v_mad_u64_u32 v[10:11], s[2:3], v6, s11, v[10:11]
	v_mov_b32_e32 v5, v10
	v_lshlrev_b64 v[4:5], 2, v[4:5]
	v_add_co_u32_e32 v24, vcc, s8, v4
	v_mov_b32_e32 v4, 0x1000
	v_addc_co_u32_e32 v25, vcc, v12, v5, vcc
	v_lshl_add_u32 v27, v2, 7, v4
	v_mad_u64_u32 v[4:5], s[2:3], s14, v6, 0
	v_mov_b32_e32 v10, v5
	v_mad_u64_u32 v[10:11], s[2:3], s15, v6, v[10:11]
	v_mov_b32_e32 v5, v10
	v_lshlrev_b32_e32 v26, 2, v0
	v_lshlrev_b64 v[4:5], 2, v[4:5]
	s_cmp_lg_u32 s20, 1
	v_add_co_u32_e32 v4, vcc, v4, v26
	s_mul_i32 s2, s24, s35
	s_mul_hi_u32 s3, s24, s34
	s_mov_b32 s33, s21
	s_cselect_b64 s[20:21], -1, 0
	v_addc_co_u32_e32 v5, vcc, 0, v5, vcc
	s_add_i32 s2, s3, s2
	s_mul_i32 s3, s25, s34
	v_add_co_u32_e32 v4, vcc, s12, v4
	s_add_i32 s3, s2, s3
	s_mul_i32 s2, s24, s34
	v_addc_co_u32_e32 v5, vcc, v13, v5, vcc
	s_lshl_b64 s[2:3], s[2:3], 2
	v_mov_b32_e32 v6, s3
	v_add_co_u32_e32 v10, vcc, s2, v26
	v_addc_co_u32_e32 v11, vcc, 0, v6, vcc
	v_lshlrev_b32_e32 v6, 2, v2
	v_mul_lo_u32 v11, s34, v11
	v_mul_lo_u32 v12, s35, v10
	v_mad_u64_u32 v[6:7], s[2:3], s34, v10, v[6:7]
	s_mul_i32 s29, s6, s34
	s_mul_i32 s6, s34, s34
	v_pk_mov_b32 v[8:9], s[30:31], s[30:31] op_sel:[0,1]
	v_add3_u32 v7, v12, v7, v11
	v_mov_b32_e32 v28, s19
	v_add_co_u32_e32 v6, vcc, s18, v6
	v_add_u32_e32 v23, 0x1000, v22
	v_cmp_neq_f32_e64 s[40:41], s28, 0
	s_lshl_b64 s[8:9], s[34:35], 2
	v_addc_co_u32_e32 v7, vcc, v28, v7, vcc
	s_lshl_b64 s[12:13], s[34:35], 7
	s_lshl_b64 s[42:43], s[6:7], 2
	s_mov_b64 s[44:45], 0
	v_cmp_lt_i64_e64 s[2:3], s[24:25], v[8:9]
	s_branch .LBB2_12
.LBB2_11:                               ;   in Loop: Header=BB2_12 Depth=1
	s_or_b64 exec, exec, s[4:5]
	s_add_u32 s44, s44, 32
	v_mov_b32_e32 v8, s13
	v_add_co_u32_e32 v6, vcc, s12, v6
	s_addc_u32 s45, s45, 0
	v_addc_co_u32_e32 v7, vcc, v7, v8, vcc
	v_pk_mov_b32 v[8:9], s[34:35], s[34:35] op_sel:[0,1]
	v_cmp_lt_i64_e32 vcc, s[44:45], v[8:9]
	s_cbranch_vccz .LBB2_53
.LBB2_12:                               ; =>This Loop Header: Depth=1
                                        ;     Child Loop BB2_15 Depth 2
                                        ;       Child Loop BB2_17 Depth 3
	v_mov_b32_e32 v9, s45
	v_add_co_u32_e32 v8, vcc, s44, v0
	v_addc_co_u32_e32 v9, vcc, 0, v9, vcc
	s_andn2_b64 vcc, exec, s[2:3]
	v_cmp_gt_i64_e64 s[4:5], s[34:35], v[8:9]
	v_mov_b32_e32 v29, 0
	s_cbranch_vccnz .LBB2_41
; %bb.13:                               ;   in Loop: Header=BB2_12 Depth=1
	v_lshlrev_b64 v[10:11], 2, v[8:9]
	v_add_co_u32_e32 v30, vcc, s18, v10
	v_addc_co_u32_e32 v31, vcc, v28, v11, vcc
	v_mov_b32_e32 v29, 0
	v_pk_mov_b32 v[10:11], v[6:7], v[6:7] op_sel:[0,1]
	s_mov_b64 s[46:47], s[24:25]
	s_branch .LBB2_15
.LBB2_14:                               ;   in Loop: Header=BB2_15 Depth=2
	s_add_u32 s46, s46, 1
	v_mov_b32_e32 v12, s43
	v_add_co_u32_e32 v10, vcc, s42, v10
	s_addc_u32 s47, s47, 0
	v_addc_co_u32_e32 v11, vcc, v11, v12, vcc
	v_pk_mov_b32 v[12:13], s[30:31], s[30:31] op_sel:[0,1]
	v_cmp_ge_i64_e32 vcc, s[46:47], v[12:13]
	s_cbranch_vccnz .LBB2_41
.LBB2_15:                               ;   Parent Loop BB2_12 Depth=1
                                        ; =>  This Loop Header: Depth=2
                                        ;       Child Loop BB2_17 Depth 3
	s_mul_i32 s19, s6, s47
	s_mul_hi_u32 s48, s6, s46
	s_add_i32 s19, s48, s19
	s_mul_i32 s48, s7, s46
	s_add_i32 s49, s19, s48
	s_lshl_b64 s[50:51], s[46:47], 3
	s_add_u32 s50, s16, s50
	s_addc_u32 s51, s17, s51
	s_load_dwordx2 s[50:51], s[50:51], 0x0
	s_mul_i32 s48, s6, s46
	v_pk_mov_b32 v[14:15], v[10:11], v[10:11] op_sel:[0,1]
	s_waitcnt lgkmcnt(0)
	s_sub_u32 s50, s50, s33
	s_subb_u32 s51, s51, 0
	s_lshl_b64 s[48:49], s[48:49], 2
	v_mov_b32_e32 v12, s49
	v_add_co_u32_e32 v32, vcc, s48, v30
	s_mul_i32 s19, s50, s35
	s_mul_hi_u32 s52, s50, s34
	v_addc_co_u32_e32 v33, vcc, v31, v12, vcc
	s_mul_i32 s48, s9, s50
	s_mul_i32 s49, s8, s51
	v_mov_b32_e32 v12, s50
	s_add_i32 s19, s52, s19
	s_mul_i32 s52, s51, s34
	s_add_i32 s51, s49, s48
	v_mad_u64_u32 v[12:13], s[48:49], s8, v12, v[4:5]
	s_add_i32 s19, s19, s52
	s_mul_i32 s58, s50, s34
	v_add_u32_e32 v13, s51, v13
	s_mov_b64 s[48:49], 0
	s_branch .LBB2_17
.LBB2_16:                               ;   in Loop: Header=BB2_17 Depth=3
	s_or_b64 exec, exec, s[52:53]
	s_waitcnt vmcnt(0)
	ds_write_b32 v22, v18
	s_waitcnt lgkmcnt(0)
	s_barrier
	ds_read2_b32 v[46:47], v26 offset1:32
	ds_read_b128 v[16:19], v27
	ds_read_b128 v[34:37], v27 offset:16
	ds_read2_b32 v[48:49], v26 offset0:64 offset1:96
	ds_read_b128 v[38:41], v27 offset:32
	ds_read_b128 v[42:45], v27 offset:48
	ds_read2_b32 v[50:51], v26 offset0:128 offset1:160
	s_waitcnt lgkmcnt(5)
	v_fmac_f32_e32 v29, v46, v16
	v_fmac_f32_e32 v29, v47, v17
	ds_read2_b32 v[16:17], v26 offset0:192 offset1:224
	s_waitcnt lgkmcnt(4)
	v_fmac_f32_e32 v29, v48, v18
	v_fmac_f32_e32 v29, v49, v19
	s_waitcnt lgkmcnt(1)
	v_fmac_f32_e32 v29, v50, v34
	v_add_u32_e32 v46, 0x400, v26
	ds_read2_b32 v[18:19], v46 offset1:32
	v_fmac_f32_e32 v29, v51, v35
	s_waitcnt lgkmcnt(1)
	v_fmac_f32_e32 v29, v16, v36
	v_fmac_f32_e32 v29, v17, v37
	ds_read2_b32 v[16:17], v46 offset0:64 offset1:96
	ds_read2_b32 v[34:35], v46 offset0:128 offset1:160
	s_waitcnt lgkmcnt(2)
	v_fmac_f32_e32 v29, v18, v38
	v_fmac_f32_e32 v29, v19, v39
	ds_read2_b32 v[36:37], v46 offset0:192 offset1:224
	s_waitcnt lgkmcnt(2)
	v_fmac_f32_e32 v29, v16, v40
	v_fmac_f32_e32 v29, v17, v41
	s_waitcnt lgkmcnt(1)
	v_fmac_f32_e32 v29, v34, v42
	v_fmac_f32_e32 v29, v35, v43
	s_waitcnt lgkmcnt(0)
	v_fmac_f32_e32 v29, v36, v44
	v_add_u32_e32 v44, 0x800, v26
	ds_read2_b32 v[38:39], v44 offset1:32
	ds_read_b128 v[16:19], v27 offset:64
	v_fmac_f32_e32 v29, v37, v45
	ds_read2_b32 v[40:41], v44 offset0:64 offset1:96
	ds_read2_b32 v[42:43], v44 offset0:128 offset1:160
	ds_read_b128 v[34:37], v27 offset:80
	v_add_co_u32_e32 v12, vcc, 0x80, v12
	s_waitcnt lgkmcnt(3)
	v_fmac_f32_e32 v29, v38, v16
	v_fmac_f32_e32 v29, v39, v17
	ds_read2_b32 v[38:39], v44 offset0:192 offset1:224
	s_waitcnt lgkmcnt(3)
	v_fmac_f32_e32 v29, v40, v18
	v_fmac_f32_e32 v29, v41, v19
	v_add_u32_e32 v44, 0xc00, v26
	s_waitcnt lgkmcnt(1)
	v_fmac_f32_e32 v29, v42, v34
	ds_read2_b32 v[40:41], v44 offset1:32
	ds_read_b128 v[16:19], v27 offset:96
	v_fmac_f32_e32 v29, v43, v35
	s_waitcnt lgkmcnt(2)
	v_fmac_f32_e32 v29, v38, v36
	v_fmac_f32_e32 v29, v39, v37
	ds_read2_b32 v[38:39], v44 offset0:64 offset1:96
	ds_read_b128 v[34:37], v27 offset:112
	ds_read2_b32 v[42:43], v44 offset0:128 offset1:160
	s_waitcnt lgkmcnt(3)
	v_fmac_f32_e32 v29, v40, v16
	v_fmac_f32_e32 v29, v41, v17
	ds_read2_b32 v[16:17], v44 offset0:192 offset1:224
	s_waitcnt lgkmcnt(3)
	v_fmac_f32_e32 v29, v38, v18
	v_fmac_f32_e32 v29, v39, v19
	s_waitcnt lgkmcnt(1)
	v_fmac_f32_e32 v29, v42, v34
	v_fmac_f32_e32 v29, v43, v35
	v_addc_co_u32_e32 v13, vcc, 0, v13, vcc
	s_waitcnt lgkmcnt(0)
	v_fmac_f32_e32 v29, v16, v36
	s_add_u32 s48, s48, 32
	v_add_co_u32_e32 v14, vcc, 0x80, v14
	v_fmac_f32_e32 v29, v17, v37
	s_addc_u32 s49, s49, 0
	v_addc_co_u32_e32 v15, vcc, 0, v15, vcc
	v_pk_mov_b32 v[16:17], s[34:35], s[34:35] op_sel:[0,1]
	v_cmp_ge_i64_e32 vcc, s[48:49], v[16:17]
	s_barrier
	s_cbranch_vccnz .LBB2_14
.LBB2_17:                               ;   Parent Loop BB2_12 Depth=1
                                        ;     Parent Loop BB2_15 Depth=2
                                        ; =>    This Inner Loop Header: Depth=3
	s_and_b64 vcc, exec, s[36:37]
	s_cbranch_vccz .LBB2_23
; %bb.18:                               ;   in Loop: Header=BB2_17 Depth=3
	s_mov_b64 s[50:51], 0
	s_mov_b64 s[52:53], 0
                                        ; implicit-def: $vgpr16_vgpr17
	s_and_saveexec_b64 s[54:55], s[0:1]
	s_cbranch_execz .LBB2_22
; %bb.19:                               ;   in Loop: Header=BB2_17 Depth=3
	v_mov_b32_e32 v16, s49
	v_add_co_u32_e32 v18, vcc, s48, v0
	v_addc_co_u32_e32 v19, vcc, 0, v16, vcc
	v_cmp_gt_i64_e32 vcc, s[34:35], v[18:19]
                                        ; implicit-def: $vgpr16_vgpr17
	s_and_saveexec_b64 s[56:57], vcc
	s_xor_b64 s[56:57], exec, s[56:57]
; %bb.20:                               ;   in Loop: Header=BB2_17 Depth=3
	v_mov_b32_e32 v16, s19
	v_add_co_u32_e32 v17, vcc, s58, v18
	v_addc_co_u32_e32 v16, vcc, v19, v16, vcc
	v_mul_lo_u32 v18, v16, s14
	v_mul_lo_u32 v19, v17, s15
	v_mad_u64_u32 v[16:17], s[60:61], v17, s14, 0
	v_add3_u32 v17, v17, v19, v18
	v_lshlrev_b64 v[16:17], 2, v[16:17]
	v_add_co_u32_e32 v16, vcc, v20, v16
	s_mov_b64 s[52:53], exec
	v_addc_co_u32_e32 v17, vcc, v21, v17, vcc
; %bb.21:                               ;   in Loop: Header=BB2_17 Depth=3
	s_or_b64 exec, exec, s[56:57]
	s_and_b64 s[52:53], s[52:53], exec
.LBB2_22:                               ;   in Loop: Header=BB2_17 Depth=3
	s_or_b64 exec, exec, s[54:55]
	s_mov_b32 s54, 0
	s_and_b64 vcc, exec, s[50:51]
	s_cbranch_vccnz .LBB2_24
	s_branch .LBB2_27
.LBB2_23:                               ;   in Loop: Header=BB2_17 Depth=3
	s_mov_b64 s[52:53], 0
                                        ; implicit-def: $vgpr16_vgpr17
                                        ; implicit-def: $sgpr54
	s_cbranch_execz .LBB2_27
.LBB2_24:                               ;   in Loop: Header=BB2_17 Depth=3
	s_and_saveexec_b64 s[50:51], s[0:1]
; %bb.25:                               ;   in Loop: Header=BB2_17 Depth=3
	v_mov_b32_e32 v17, s49
	v_add_co_u32_e32 v16, vcc, s48, v0
	v_addc_co_u32_e32 v17, vcc, 0, v17, vcc
	v_cmp_gt_i64_e32 vcc, s[34:35], v[16:17]
	s_andn2_b64 s[52:53], s[52:53], exec
	s_and_b64 s[54:55], vcc, exec
	s_or_b64 s[52:53], s[52:53], s[54:55]
; %bb.26:                               ;   in Loop: Header=BB2_17 Depth=3
	s_or_b64 exec, exec, s[50:51]
	s_mov_b32 s54, 0
	v_pk_mov_b32 v[16:17], v[12:13], v[12:13] op_sel:[0,1]
.LBB2_27:                               ;   in Loop: Header=BB2_17 Depth=3
	v_mov_b32_e32 v18, s54
	s_and_saveexec_b64 s[50:51], s[52:53]
	s_cbranch_execnz .LBB2_35
; %bb.28:                               ;   in Loop: Header=BB2_17 Depth=3
	s_or_b64 exec, exec, s[50:51]
	s_and_b64 vcc, exec, s[26:27]
	ds_write_b32 v23, v18
	s_cbranch_vccz .LBB2_36
.LBB2_29:                               ;   in Loop: Header=BB2_17 Depth=3
	s_mov_b64 s[52:53], 0
	s_mov_b64 s[50:51], 0
                                        ; implicit-def: $vgpr16_vgpr17
	s_and_saveexec_b64 s[54:55], s[4:5]
	s_cbranch_execz .LBB2_33
; %bb.30:                               ;   in Loop: Header=BB2_17 Depth=3
	v_mov_b32_e32 v16, s49
	v_add_co_u32_e32 v18, vcc, s48, v2
	v_addc_co_u32_e32 v19, vcc, 0, v16, vcc
	v_cmp_gt_i64_e32 vcc, s[34:35], v[18:19]
                                        ; implicit-def: $vgpr16_vgpr17
	s_and_saveexec_b64 s[56:57], vcc
	s_xor_b64 s[56:57], exec, s[56:57]
; %bb.31:                               ;   in Loop: Header=BB2_17 Depth=3
	v_mul_lo_u32 v19, v19, s34
	v_mul_lo_u32 v34, v18, s35
	v_mad_u64_u32 v[16:17], s[60:61], v18, s34, 0
	v_add3_u32 v17, v17, v34, v19
	v_lshlrev_b64 v[16:17], 2, v[16:17]
	v_add_co_u32_e32 v16, vcc, v32, v16
	s_mov_b64 s[50:51], exec
	v_addc_co_u32_e32 v17, vcc, v33, v17, vcc
; %bb.32:                               ;   in Loop: Header=BB2_17 Depth=3
	s_or_b64 exec, exec, s[56:57]
	s_and_b64 s[50:51], s[50:51], exec
.LBB2_33:                               ;   in Loop: Header=BB2_17 Depth=3
	s_or_b64 exec, exec, s[54:55]
	s_mov_b32 s54, 0
	s_and_b64 vcc, exec, s[52:53]
	s_cbranch_vccnz .LBB2_37
.LBB2_34:                               ;   in Loop: Header=BB2_17 Depth=3
	v_mov_b32_e32 v18, s54
	s_and_saveexec_b64 s[52:53], s[50:51]
	s_cbranch_execz .LBB2_16
	s_branch .LBB2_40
.LBB2_35:                               ;   in Loop: Header=BB2_17 Depth=3
	global_load_dword v18, v[16:17], off
	s_or_b64 exec, exec, s[50:51]
	s_and_b64 vcc, exec, s[26:27]
	s_waitcnt vmcnt(0)
	ds_write_b32 v23, v18
	s_cbranch_vccnz .LBB2_29
.LBB2_36:                               ;   in Loop: Header=BB2_17 Depth=3
	s_mov_b64 s[50:51], 0
                                        ; implicit-def: $vgpr16_vgpr17
                                        ; implicit-def: $sgpr54
	s_cbranch_execz .LBB2_34
.LBB2_37:                               ;   in Loop: Header=BB2_17 Depth=3
	s_and_saveexec_b64 s[52:53], s[4:5]
; %bb.38:                               ;   in Loop: Header=BB2_17 Depth=3
	v_mov_b32_e32 v17, s49
	v_add_co_u32_e32 v16, vcc, s48, v2
	v_addc_co_u32_e32 v17, vcc, 0, v17, vcc
	v_cmp_gt_i64_e32 vcc, s[34:35], v[16:17]
	s_andn2_b64 s[50:51], s[50:51], exec
	s_and_b64 s[54:55], vcc, exec
	s_or_b64 s[50:51], s[50:51], s[54:55]
; %bb.39:                               ;   in Loop: Header=BB2_17 Depth=3
	s_or_b64 exec, exec, s[52:53]
	s_mov_b32 s54, 0
	v_pk_mov_b32 v[16:17], v[14:15], v[14:15] op_sel:[0,1]
	v_mov_b32_e32 v18, s54
	s_and_saveexec_b64 s[52:53], s[50:51]
	s_cbranch_execz .LBB2_16
.LBB2_40:                               ;   in Loop: Header=BB2_17 Depth=3
	global_load_dword v18, v[16:17], off
	s_branch .LBB2_16
.LBB2_41:                               ;   in Loop: Header=BB2_12 Depth=1
	v_cmp_gt_i64_e32 vcc, s[34:35], v[8:9]
	s_and_b64 s[46:47], s[38:39], vcc
	s_and_saveexec_b64 s[4:5], s[46:47]
	s_cbranch_execz .LBB2_11
; %bb.42:                               ;   in Loop: Header=BB2_12 Depth=1
	v_mov_b32_e32 v10, s23
	v_add_co_u32_e32 v8, vcc, s29, v8
	v_addc_co_u32_e32 v9, vcc, v9, v10, vcc
	s_mov_b64 s[46:47], -1
	s_and_b64 vcc, exec, s[40:41]
	s_cbranch_vccz .LBB2_48
; %bb.43:                               ;   in Loop: Header=BB2_12 Depth=1
	s_and_b64 vcc, exec, s[20:21]
	s_cbranch_vccz .LBB2_45
; %bb.44:                               ;   in Loop: Header=BB2_12 Depth=1
	v_mul_lo_u32 v12, v9, s10
	v_mul_lo_u32 v13, v8, s11
	v_mad_u64_u32 v[10:11], s[46:47], v8, s10, 0
	v_add3_u32 v11, v11, v13, v12
	v_lshlrev_b64 v[10:11], 2, v[10:11]
	v_add_co_u32_e32 v10, vcc, v1, v10
	v_addc_co_u32_e32 v11, vcc, v3, v11, vcc
	global_load_dword v12, v[10:11], off
	v_mul_f32_e32 v13, s22, v29
	s_mov_b64 s[46:47], 0
	s_waitcnt vmcnt(0)
	v_fmac_f32_e32 v13, s28, v12
	global_store_dword v[10:11], v13, off
.LBB2_45:                               ;   in Loop: Header=BB2_12 Depth=1
	s_andn2_b64 vcc, exec, s[46:47]
	s_cbranch_vccnz .LBB2_47
; %bb.46:                               ;   in Loop: Header=BB2_12 Depth=1
	v_lshlrev_b64 v[10:11], 2, v[8:9]
	v_add_co_u32_e32 v10, vcc, v24, v10
	v_addc_co_u32_e32 v11, vcc, v25, v11, vcc
	global_load_dword v12, v[10:11], off
	v_mul_f32_e32 v13, s22, v29
	s_waitcnt vmcnt(0)
	v_fmac_f32_e32 v13, s28, v12
	global_store_dword v[10:11], v13, off
.LBB2_47:                               ;   in Loop: Header=BB2_12 Depth=1
	s_mov_b64 s[46:47], 0
.LBB2_48:                               ;   in Loop: Header=BB2_12 Depth=1
	s_andn2_b64 vcc, exec, s[46:47]
	s_cbranch_vccnz .LBB2_11
; %bb.49:                               ;   in Loop: Header=BB2_12 Depth=1
	v_mul_f32_e32 v10, s22, v29
	s_mov_b64 s[46:47], -1
	s_and_b64 vcc, exec, s[20:21]
	s_cbranch_vccz .LBB2_51
; %bb.50:                               ;   in Loop: Header=BB2_12 Depth=1
	v_mul_lo_u32 v11, v9, s10
	v_mul_lo_u32 v14, v8, s11
	v_mad_u64_u32 v[12:13], s[46:47], v8, s10, 0
	v_add3_u32 v13, v13, v14, v11
	v_lshlrev_b64 v[12:13], 2, v[12:13]
	v_add_co_u32_e32 v12, vcc, v1, v12
	v_addc_co_u32_e32 v13, vcc, v3, v13, vcc
	global_store_dword v[12:13], v10, off
	s_mov_b64 s[46:47], 0
.LBB2_51:                               ;   in Loop: Header=BB2_12 Depth=1
	s_andn2_b64 vcc, exec, s[46:47]
	s_cbranch_vccnz .LBB2_11
; %bb.52:                               ;   in Loop: Header=BB2_12 Depth=1
	v_lshlrev_b64 v[8:9], 2, v[8:9]
	v_add_co_u32_e32 v8, vcc, v24, v8
	v_addc_co_u32_e32 v9, vcc, v25, v9, vcc
	global_store_dword v[8:9], v10, off
	s_branch .LBB2_11
.LBB2_53:
	s_endpgm
	.section	.rodata,"a",@progbits
	.p2align	6, 0x0
	.amdhsa_kernel _ZN9rocsparseL29bsrmm_general_blockdim_kernelILj32ELj32EllffffEEvb20rocsparse_direction_T2_S2_llNS_24const_host_device_scalarIT6_EEPKT1_PKS2_PKT3_S2_PKT4_llS5_PT5_ll16rocsparse_order_21rocsparse_index_base_b
		.amdhsa_group_segment_fixed_size 8192
		.amdhsa_private_segment_fixed_size 0
		.amdhsa_kernarg_size 148
		.amdhsa_user_sgpr_count 6
		.amdhsa_user_sgpr_private_segment_buffer 1
		.amdhsa_user_sgpr_dispatch_ptr 0
		.amdhsa_user_sgpr_queue_ptr 0
		.amdhsa_user_sgpr_kernarg_segment_ptr 1
		.amdhsa_user_sgpr_dispatch_id 0
		.amdhsa_user_sgpr_flat_scratch_init 0
		.amdhsa_user_sgpr_kernarg_preload_length 0
		.amdhsa_user_sgpr_kernarg_preload_offset 0
		.amdhsa_user_sgpr_private_segment_size 0
		.amdhsa_uses_dynamic_stack 0
		.amdhsa_system_sgpr_private_segment_wavefront_offset 0
		.amdhsa_system_sgpr_workgroup_id_x 1
		.amdhsa_system_sgpr_workgroup_id_y 1
		.amdhsa_system_sgpr_workgroup_id_z 0
		.amdhsa_system_sgpr_workgroup_info 0
		.amdhsa_system_vgpr_workitem_id 1
		.amdhsa_next_free_vgpr 52
		.amdhsa_next_free_sgpr 62
		.amdhsa_accum_offset 52
		.amdhsa_reserve_vcc 1
		.amdhsa_reserve_flat_scratch 0
		.amdhsa_float_round_mode_32 0
		.amdhsa_float_round_mode_16_64 0
		.amdhsa_float_denorm_mode_32 3
		.amdhsa_float_denorm_mode_16_64 3
		.amdhsa_dx10_clamp 1
		.amdhsa_ieee_mode 1
		.amdhsa_fp16_overflow 0
		.amdhsa_tg_split 0
		.amdhsa_exception_fp_ieee_invalid_op 0
		.amdhsa_exception_fp_denorm_src 0
		.amdhsa_exception_fp_ieee_div_zero 0
		.amdhsa_exception_fp_ieee_overflow 0
		.amdhsa_exception_fp_ieee_underflow 0
		.amdhsa_exception_fp_ieee_inexact 0
		.amdhsa_exception_int_div_zero 0
	.end_amdhsa_kernel
	.section	.text._ZN9rocsparseL29bsrmm_general_blockdim_kernelILj32ELj32EllffffEEvb20rocsparse_direction_T2_S2_llNS_24const_host_device_scalarIT6_EEPKT1_PKS2_PKT3_S2_PKT4_llS5_PT5_ll16rocsparse_order_21rocsparse_index_base_b,"axG",@progbits,_ZN9rocsparseL29bsrmm_general_blockdim_kernelILj32ELj32EllffffEEvb20rocsparse_direction_T2_S2_llNS_24const_host_device_scalarIT6_EEPKT1_PKS2_PKT3_S2_PKT4_llS5_PT5_ll16rocsparse_order_21rocsparse_index_base_b,comdat
.Lfunc_end2:
	.size	_ZN9rocsparseL29bsrmm_general_blockdim_kernelILj32ELj32EllffffEEvb20rocsparse_direction_T2_S2_llNS_24const_host_device_scalarIT6_EEPKT1_PKS2_PKT3_S2_PKT4_llS5_PT5_ll16rocsparse_order_21rocsparse_index_base_b, .Lfunc_end2-_ZN9rocsparseL29bsrmm_general_blockdim_kernelILj32ELj32EllffffEEvb20rocsparse_direction_T2_S2_llNS_24const_host_device_scalarIT6_EEPKT1_PKS2_PKT3_S2_PKT4_llS5_PT5_ll16rocsparse_order_21rocsparse_index_base_b
                                        ; -- End function
	.section	.AMDGPU.csdata,"",@progbits
; Kernel info:
; codeLenInByte = 2296
; NumSgprs: 66
; NumVgprs: 52
; NumAgprs: 0
; TotalNumVgprs: 52
; ScratchSize: 0
; MemoryBound: 0
; FloatMode: 240
; IeeeMode: 1
; LDSByteSize: 8192 bytes/workgroup (compile time only)
; SGPRBlocks: 8
; VGPRBlocks: 6
; NumSGPRsForWavesPerEU: 66
; NumVGPRsForWavesPerEU: 52
; AccumOffset: 52
; Occupancy: 8
; WaveLimiterHint : 1
; COMPUTE_PGM_RSRC2:SCRATCH_EN: 0
; COMPUTE_PGM_RSRC2:USER_SGPR: 6
; COMPUTE_PGM_RSRC2:TRAP_HANDLER: 0
; COMPUTE_PGM_RSRC2:TGID_X_EN: 1
; COMPUTE_PGM_RSRC2:TGID_Y_EN: 1
; COMPUTE_PGM_RSRC2:TGID_Z_EN: 0
; COMPUTE_PGM_RSRC2:TIDIG_COMP_CNT: 1
; COMPUTE_PGM_RSRC3_GFX90A:ACCUM_OFFSET: 12
; COMPUTE_PGM_RSRC3_GFX90A:TG_SPLIT: 0
	.section	.text._ZN9rocsparseL29bsrmm_general_blockdim_kernelILj32ELj32EiiddddEEvb20rocsparse_direction_T2_S2_llNS_24const_host_device_scalarIT6_EEPKT1_PKS2_PKT3_S2_PKT4_llS5_PT5_ll16rocsparse_order_21rocsparse_index_base_b,"axG",@progbits,_ZN9rocsparseL29bsrmm_general_blockdim_kernelILj32ELj32EiiddddEEvb20rocsparse_direction_T2_S2_llNS_24const_host_device_scalarIT6_EEPKT1_PKS2_PKT3_S2_PKT4_llS5_PT5_ll16rocsparse_order_21rocsparse_index_base_b,comdat
	.globl	_ZN9rocsparseL29bsrmm_general_blockdim_kernelILj32ELj32EiiddddEEvb20rocsparse_direction_T2_S2_llNS_24const_host_device_scalarIT6_EEPKT1_PKS2_PKT3_S2_PKT4_llS5_PT5_ll16rocsparse_order_21rocsparse_index_base_b ; -- Begin function _ZN9rocsparseL29bsrmm_general_blockdim_kernelILj32ELj32EiiddddEEvb20rocsparse_direction_T2_S2_llNS_24const_host_device_scalarIT6_EEPKT1_PKS2_PKT3_S2_PKT4_llS5_PT5_ll16rocsparse_order_21rocsparse_index_base_b
	.p2align	8
	.type	_ZN9rocsparseL29bsrmm_general_blockdim_kernelILj32ELj32EiiddddEEvb20rocsparse_direction_T2_S2_llNS_24const_host_device_scalarIT6_EEPKT1_PKS2_PKT3_S2_PKT4_llS5_PT5_ll16rocsparse_order_21rocsparse_index_base_b,@function
_ZN9rocsparseL29bsrmm_general_blockdim_kernelILj32ELj32EiiddddEEvb20rocsparse_direction_T2_S2_llNS_24const_host_device_scalarIT6_EEPKT1_PKS2_PKT3_S2_PKT4_llS5_PT5_ll16rocsparse_order_21rocsparse_index_base_b: ; @_ZN9rocsparseL29bsrmm_general_blockdim_kernelILj32ELj32EiiddddEEvb20rocsparse_direction_T2_S2_llNS_24const_host_device_scalarIT6_EEPKT1_PKS2_PKT3_S2_PKT4_llS5_PT5_ll16rocsparse_order_21rocsparse_index_base_b
; %bb.0:
	s_load_dwordx4 s[8:11], s[4:5], 0x80
	s_load_dwordx2 s[12:13], s[4:5], 0x20
	s_load_dwordx2 s[2:3], s[4:5], 0x60
	s_mov_b32 s0, s7
	s_waitcnt lgkmcnt(0)
	s_bitcmp1_b32 s10, 0
	s_cselect_b64 s[14:15], -1, 0
	s_xor_b64 s[10:11], s[14:15], -1
	s_and_b64 vcc, exec, s[14:15]
	v_pk_mov_b32 v[2:3], s[12:13], s[12:13] op_sel:[0,1]
	s_cbranch_vccnz .LBB3_2
; %bb.1:
	v_pk_mov_b32 v[2:3], s[12:13], s[12:13] op_sel:[0,1]
	flat_load_dwordx2 v[2:3], v[2:3]
.LBB3_2:
	s_andn2_b64 vcc, exec, s[10:11]
	v_pk_mov_b32 v[4:5], s[2:3], s[2:3] op_sel:[0,1]
	s_cbranch_vccnz .LBB3_4
; %bb.3:
	v_pk_mov_b32 v[4:5], s[2:3], s[2:3] op_sel:[0,1]
	flat_load_dwordx2 v[4:5], v[4:5]
.LBB3_4:
	s_waitcnt vmcnt(0) lgkmcnt(0)
	v_cmp_neq_f64_e32 vcc, 0, v[2:3]
	v_cmp_neq_f64_e64 s[2:3], 1.0, v[4:5]
	s_or_b64 s[2:3], vcc, s[2:3]
	s_and_saveexec_b64 s[10:11], s[2:3]
	s_cbranch_execz .LBB3_56
; %bb.5:
	s_load_dwordx4 s[24:27], s[4:5], 0x0
	s_load_dwordx2 s[10:11], s[4:5], 0x28
	s_mov_b32 s33, 0
	s_mov_b32 s38, 0
	s_waitcnt lgkmcnt(0)
	s_cmp_lt_i32 s6, s26
	s_cselect_b64 s[2:3], -1, 0
	s_cmp_ge_i32 s6, s26
	s_cbranch_scc0 .LBB3_8
; %bb.6:
	s_andn2_b64 vcc, exec, s[2:3]
	s_cbranch_vccz .LBB3_9
.LBB3_7:
	s_load_dword s39, s[4:5], 0x40
	s_waitcnt lgkmcnt(0)
	s_cmp_lt_i32 s39, 1
	s_cbranch_scc0 .LBB3_10
	s_branch .LBB3_56
.LBB3_8:
	s_ashr_i32 s7, s6, 31
	s_lshl_b64 s[12:13], s[6:7], 2
	s_add_u32 s12, s10, s12
	s_addc_u32 s13, s11, s13
	s_load_dword s1, s[12:13], 0x0
	s_waitcnt lgkmcnt(0)
	s_sub_i32 s38, s1, s9
	s_andn2_b64 vcc, exec, s[2:3]
	s_cbranch_vccnz .LBB3_7
.LBB3_9:
	s_ashr_i32 s7, s6, 31
	s_lshl_b64 s[12:13], s[6:7], 2
	s_add_u32 s10, s10, s12
	s_addc_u32 s11, s11, s13
	s_load_dword s1, s[10:11], 0x4
	s_waitcnt lgkmcnt(0)
	s_sub_i32 s33, s1, s9
	s_load_dword s39, s[4:5], 0x40
	s_waitcnt lgkmcnt(0)
	s_cmp_lt_i32 s39, 1
	s_cbranch_scc1 .LBB3_56
.LBB3_10:
	s_load_dwordx4 s[12:15], s[4:5], 0x68
	s_load_dwordx4 s[16:19], s[4:5], 0x30
	;; [unrolled: 1-line block ×3, first 2 shown]
	v_and_b32_e32 v1, 0x3ff, v0
	v_bfe_u32 v0, v0, 10, 10
	v_lshl_add_u32 v6, s0, 5, v0
	v_ashrrev_i32_e32 v7, 31, v6
	v_lshlrev_b32_e32 v10, 5, v0
	s_mul_i32 s40, s6, s39
	v_lshlrev_b64 v[8:9], 3, v[6:7]
	v_add_lshl_u32 v18, v10, v1, 3
	s_waitcnt lgkmcnt(0)
	v_mul_lo_u32 v13, v7, s22
	v_mul_lo_u32 v14, v6, s23
	v_mad_u64_u32 v[10:11], s[6:7], v6, s22, 0
	v_mov_b32_e32 v12, s21
	v_add_co_u32_e32 v16, vcc, s20, v8
	v_add3_u32 v11, v11, v14, v13
	v_addc_co_u32_e32 v17, vcc, v12, v9, vcc
	v_lshlrev_b64 v[10:11], 3, v[10:11]
	v_add_co_u32_e32 v20, vcc, s20, v10
	v_addc_co_u32_e32 v21, vcc, v12, v11, vcc
	v_mov_b32_e32 v10, s13
	v_add_co_u32_e32 v22, vcc, s12, v8
	s_bitcmp1_b32 s24, 0
	v_cmp_gt_i32_e64 s[0:1], s27, v6
	v_addc_co_u32_e32 v23, vcc, v10, v9, vcc
	v_mul_lo_u32 v8, v7, s14
	v_mul_lo_u32 v9, v6, s15
	v_mad_u64_u32 v[6:7], s[6:7], v6, s14, 0
	s_cselect_b64 s[4:5], -1, 0
	v_add3_u32 v7, v7, v9, v8
	s_xor_b64 s[10:11], s[4:5], -1
	v_lshlrev_b64 v[6:7], 3, v[6:7]
	s_cmp_lt_i32 s38, s33
	v_add_co_u32_e32 v24, vcc, s12, v6
	v_mov_b32_e32 v6, 0x2000
	s_mul_i32 s6, s38, s39
	s_cselect_b64 s[4:5], -1, 0
	s_cmp_lg_u32 s25, 0
	v_lshl_add_u32 v27, v0, 8, v6
	v_add_u32_e32 v6, s6, v1
	s_cselect_b64 s[20:21], -1, 0
	s_and_b64 s[24:25], s[2:3], s[0:1]
	v_addc_co_u32_e32 v25, vcc, v10, v7, vcc
	v_mad_u64_u32 v[6:7], s[6:7], s39, v6, v[0:1]
	s_cmp_lg_u32 s8, 1
	v_cndmask_b32_e64 v7, 0, 1, s[4:5]
	v_add_u32_e32 v19, 0x2000, v18
	s_mov_b32 s41, 0
	v_cmp_neq_f64_e64 s[2:3], 0, v[4:5]
	s_cselect_b64 s[26:27], -1, 0
	v_lshlrev_b32_e32 v26, 3, v1
	s_lshl_b32 s8, s39, 5
	s_mul_i32 s42, s39, s39
	v_cmp_ne_u32_e64 s[4:5], 1, v7
	s_branch .LBB3_12
.LBB3_11:                               ;   in Loop: Header=BB3_12 Depth=1
	s_or_b64 exec, exec, s[6:7]
	s_add_i32 s41, s41, 32
	s_cmp_lt_i32 s41, s39
	v_add_u32_e32 v6, s8, v6
	s_cbranch_scc0 .LBB3_56
.LBB3_12:                               ; =>This Loop Header: Depth=1
                                        ;     Child Loop BB3_15 Depth 2
                                        ;       Child Loop BB3_17 Depth 3
	v_add_u32_e32 v10, s41, v1
	s_and_b64 vcc, exec, s[4:5]
	v_pk_mov_b32 v[8:9], 0, 0
	v_cmp_gt_i32_e64 s[6:7], s39, v10
	s_cbranch_vccnz .LBB3_45
; %bb.13:                               ;   in Loop: Header=BB3_12 Depth=1
	v_pk_mov_b32 v[8:9], 0, 0
	v_mov_b32_e32 v7, v6
	s_mov_b32 s12, s38
	s_branch .LBB3_15
.LBB3_14:                               ;   in Loop: Header=BB3_15 Depth=2
	s_add_i32 s12, s12, 1
	s_cmp_ge_i32 s12, s33
	v_add_u32_e32 v7, s42, v7
	s_cbranch_scc1 .LBB3_45
.LBB3_15:                               ;   Parent Loop BB3_12 Depth=1
                                        ; =>  This Loop Header: Depth=2
                                        ;       Child Loop BB3_17 Depth 3
	s_ashr_i32 s13, s12, 31
	s_lshl_b64 s[28:29], s[12:13], 2
	s_add_u32 s28, s16, s28
	s_addc_u32 s29, s17, s29
	s_load_dword s28, s[28:29], 0x0
	s_mul_i32 s13, s12, s39
	s_mov_b32 s43, 0
	s_waitcnt lgkmcnt(0)
	s_sub_i32 s28, s28, s9
	s_mul_i32 s28, s28, s39
	v_add_u32_e32 v11, s28, v1
	s_branch .LBB3_17
.LBB3_16:                               ;   in Loop: Header=BB3_17 Depth=3
	s_or_b64 exec, exec, s[30:31]
	s_waitcnt vmcnt(0)
	ds_write_b64 v18, v[14:15]
	s_waitcnt lgkmcnt(0)
	s_barrier
	ds_read2_b64 v[12:15], v26 offset1:32
	ds_read_b128 v[28:31], v27
	ds_read_b128 v[32:35], v27 offset:16
	ds_read2_b64 v[36:39], v26 offset0:64 offset1:96
	ds_read_b128 v[40:43], v27 offset:32
	ds_read_b128 v[44:47], v27 offset:48
	ds_read2_b64 v[48:51], v26 offset0:128 offset1:160
	s_waitcnt lgkmcnt(5)
	v_fmac_f64_e32 v[8:9], v[12:13], v[28:29]
	v_fmac_f64_e32 v[8:9], v[14:15], v[30:31]
	ds_read2_b64 v[12:15], v26 offset0:192 offset1:224
	s_waitcnt lgkmcnt(4)
	v_fmac_f64_e32 v[8:9], v[36:37], v[32:33]
	v_fmac_f64_e32 v[8:9], v[38:39], v[34:35]
	s_waitcnt lgkmcnt(1)
	v_fmac_f64_e32 v[8:9], v[48:49], v[40:41]
	v_add_u32_e32 v48, 0x800, v26
	v_fmac_f64_e32 v[8:9], v[50:51], v[42:43]
	ds_read2_b64 v[28:31], v48 offset1:32
	ds_read_b128 v[32:35], v27 offset:64
	s_waitcnt lgkmcnt(2)
	v_fmac_f64_e32 v[8:9], v[12:13], v[44:45]
	v_fmac_f64_e32 v[8:9], v[14:15], v[46:47]
	ds_read2_b64 v[12:15], v48 offset0:64 offset1:96
	ds_read_b128 v[36:39], v27 offset:80
	ds_read2_b64 v[40:43], v48 offset0:128 offset1:160
	ds_read_b128 v[44:47], v27 offset:96
	s_waitcnt lgkmcnt(4)
	v_fmac_f64_e32 v[8:9], v[28:29], v[32:33]
	v_fmac_f64_e32 v[8:9], v[30:31], v[34:35]
	ds_read2_b64 v[28:31], v48 offset0:192 offset1:224
	s_waitcnt lgkmcnt(3)
	v_fmac_f64_e32 v[8:9], v[12:13], v[36:37]
	v_fmac_f64_e32 v[8:9], v[14:15], v[38:39]
	ds_read_b128 v[12:15], v27 offset:112
	s_waitcnt lgkmcnt(2)
	v_fmac_f64_e32 v[8:9], v[40:41], v[44:45]
	v_add_u32_e32 v48, 0x1000, v26
	v_fmac_f64_e32 v[8:9], v[42:43], v[46:47]
	ds_read2_b64 v[32:35], v48 offset1:32
	ds_read_b128 v[36:39], v27 offset:128
	s_waitcnt lgkmcnt(2)
	v_fmac_f64_e32 v[8:9], v[28:29], v[12:13]
	v_fmac_f64_e32 v[8:9], v[30:31], v[14:15]
	ds_read2_b64 v[12:15], v48 offset0:64 offset1:96
	ds_read_b128 v[28:31], v27 offset:144
	ds_read2_b64 v[40:43], v48 offset0:128 offset1:160
	ds_read_b128 v[44:47], v27 offset:160
	s_waitcnt lgkmcnt(4)
	v_fmac_f64_e32 v[8:9], v[32:33], v[36:37]
	v_fmac_f64_e32 v[8:9], v[34:35], v[38:39]
	s_add_i32 s43, s43, 32
	s_waitcnt lgkmcnt(2)
	v_fmac_f64_e32 v[8:9], v[12:13], v[28:29]
	v_fmac_f64_e32 v[8:9], v[14:15], v[30:31]
	ds_read_b128 v[12:15], v27 offset:176
	ds_read2_b64 v[28:31], v48 offset0:192 offset1:224
	s_waitcnt lgkmcnt(2)
	v_fmac_f64_e32 v[8:9], v[40:41], v[44:45]
	v_add_u32_e32 v40, 0x1800, v26
	ds_read2_b64 v[32:35], v40 offset1:32
	ds_read_b128 v[36:39], v27 offset:192
	v_fmac_f64_e32 v[8:9], v[42:43], v[46:47]
	s_waitcnt lgkmcnt(2)
	v_fmac_f64_e32 v[8:9], v[28:29], v[12:13]
	v_fmac_f64_e32 v[8:9], v[30:31], v[14:15]
	ds_read_b128 v[12:15], v27 offset:208
	s_waitcnt lgkmcnt(1)
	v_fmac_f64_e32 v[8:9], v[32:33], v[36:37]
	v_fmac_f64_e32 v[8:9], v[34:35], v[38:39]
	ds_read2_b64 v[28:31], v40 offset0:64 offset1:96
	ds_read2_b64 v[32:35], v40 offset0:128 offset1:160
	ds_read_b128 v[36:39], v27 offset:224
	ds_read2_b64 v[40:43], v40 offset0:192 offset1:224
	ds_read_b128 v[44:47], v27 offset:240
	s_cmp_ge_i32 s43, s39
	s_waitcnt lgkmcnt(4)
	v_fmac_f64_e32 v[8:9], v[28:29], v[12:13]
	v_fmac_f64_e32 v[8:9], v[30:31], v[14:15]
	s_waitcnt lgkmcnt(2)
	v_fmac_f64_e32 v[8:9], v[32:33], v[36:37]
	v_fmac_f64_e32 v[8:9], v[34:35], v[38:39]
	;; [unrolled: 3-line block ×3, first 2 shown]
	s_barrier
	s_cbranch_scc1 .LBB3_14
.LBB3_17:                               ;   Parent Loop BB3_12 Depth=1
                                        ;     Parent Loop BB3_15 Depth=2
                                        ; =>    This Inner Loop Header: Depth=3
	s_and_b64 vcc, exec, s[10:11]
	s_cbranch_vccz .LBB3_23
; %bb.18:                               ;   in Loop: Header=BB3_17 Depth=3
	s_mov_b64 s[30:31], 0
	s_mov_b64 s[28:29], 0
                                        ; implicit-def: $vgpr12_vgpr13
	s_and_saveexec_b64 s[34:35], s[0:1]
	s_cbranch_execz .LBB3_22
; %bb.19:                               ;   in Loop: Header=BB3_17 Depth=3
	v_add_u32_e32 v12, s43, v1
	v_cmp_gt_i32_e32 vcc, s39, v12
                                        ; implicit-def: $vgpr12_vgpr13
	s_and_saveexec_b64 s[36:37], vcc
	s_xor_b64 s[36:37], exec, s[36:37]
; %bb.20:                               ;   in Loop: Header=BB3_17 Depth=3
	v_add_u32_e32 v12, s43, v11
	v_ashrrev_i32_e32 v13, 31, v12
	v_mul_lo_u32 v14, v13, s22
	v_mul_lo_u32 v15, v12, s23
	v_mad_u64_u32 v[12:13], s[44:45], v12, s22, 0
	v_add3_u32 v13, v13, v15, v14
	v_lshlrev_b64 v[12:13], 3, v[12:13]
	v_add_co_u32_e32 v12, vcc, v16, v12
	s_mov_b64 s[28:29], exec
	v_addc_co_u32_e32 v13, vcc, v17, v13, vcc
; %bb.21:                               ;   in Loop: Header=BB3_17 Depth=3
	s_or_b64 exec, exec, s[36:37]
	s_and_b64 s[28:29], s[28:29], exec
.LBB3_22:                               ;   in Loop: Header=BB3_17 Depth=3
	s_or_b64 exec, exec, s[34:35]
	s_and_b64 vcc, exec, s[30:31]
	s_cbranch_vccnz .LBB3_24
	s_branch .LBB3_29
.LBB3_23:                               ;   in Loop: Header=BB3_17 Depth=3
	s_mov_b64 s[30:31], -1
	s_mov_b64 s[28:29], 0
                                        ; implicit-def: $vgpr12_vgpr13
	s_cbranch_execz .LBB3_29
.LBB3_24:                               ;   in Loop: Header=BB3_17 Depth=3
                                        ; implicit-def: $vgpr12_vgpr13
	s_and_saveexec_b64 s[30:31], s[0:1]
	s_cbranch_execz .LBB3_28
; %bb.25:                               ;   in Loop: Header=BB3_17 Depth=3
	v_add_u32_e32 v12, s43, v1
	v_cmp_gt_i32_e32 vcc, s39, v12
	s_mov_b64 s[36:37], s[28:29]
                                        ; implicit-def: $vgpr12_vgpr13
	s_and_saveexec_b64 s[34:35], vcc
; %bb.26:                               ;   in Loop: Header=BB3_17 Depth=3
	v_add_u32_e32 v12, s43, v11
	v_ashrrev_i32_e32 v13, 31, v12
	v_lshlrev_b64 v[12:13], 3, v[12:13]
	v_add_co_u32_e32 v12, vcc, v20, v12
	v_addc_co_u32_e32 v13, vcc, v21, v13, vcc
	s_or_b64 s[36:37], s[28:29], exec
; %bb.27:                               ;   in Loop: Header=BB3_17 Depth=3
	s_or_b64 exec, exec, s[34:35]
	s_andn2_b64 s[28:29], s[28:29], exec
	s_and_b64 s[34:35], s[36:37], exec
	s_or_b64 s[28:29], s[28:29], s[34:35]
.LBB3_28:                               ;   in Loop: Header=BB3_17 Depth=3
	s_or_b64 exec, exec, s[30:31]
	s_mov_b64 s[30:31], 0
.LBB3_29:                               ;   in Loop: Header=BB3_17 Depth=3
	v_pk_mov_b32 v[14:15], s[30:31], s[30:31] op_sel:[0,1]
	s_and_saveexec_b64 s[30:31], s[28:29]
	s_cbranch_execnz .LBB3_37
; %bb.30:                               ;   in Loop: Header=BB3_17 Depth=3
	s_or_b64 exec, exec, s[30:31]
	s_and_b64 vcc, exec, s[20:21]
	ds_write_b64 v19, v[14:15]
	s_cbranch_vccz .LBB3_38
.LBB3_31:                               ;   in Loop: Header=BB3_17 Depth=3
	s_mov_b64 s[30:31], 0
	s_mov_b64 s[28:29], 0
                                        ; implicit-def: $vgpr12
	s_and_saveexec_b64 s[34:35], s[6:7]
	s_cbranch_execz .LBB3_35
; %bb.32:                               ;   in Loop: Header=BB3_17 Depth=3
	v_add_u32_e32 v13, s43, v0
	v_cmp_gt_i32_e32 vcc, s39, v13
                                        ; implicit-def: $vgpr12
	s_and_saveexec_b64 s[36:37], vcc
	s_xor_b64 s[36:37], exec, s[36:37]
; %bb.33:                               ;   in Loop: Header=BB3_17 Depth=3
	v_add_u32_e32 v12, s13, v13
	s_mov_b64 s[28:29], exec
	v_mad_u64_u32 v[12:13], s[44:45], v12, s39, v[10:11]
; %bb.34:                               ;   in Loop: Header=BB3_17 Depth=3
	s_or_b64 exec, exec, s[36:37]
	s_and_b64 s[28:29], s[28:29], exec
.LBB3_35:                               ;   in Loop: Header=BB3_17 Depth=3
	s_or_b64 exec, exec, s[34:35]
	s_and_b64 vcc, exec, s[30:31]
	s_cbranch_vccnz .LBB3_39
.LBB3_36:                               ;   in Loop: Header=BB3_17 Depth=3
	v_pk_mov_b32 v[14:15], s[30:31], s[30:31] op_sel:[0,1]
	s_and_saveexec_b64 s[30:31], s[28:29]
	s_cbranch_execz .LBB3_16
	s_branch .LBB3_44
.LBB3_37:                               ;   in Loop: Header=BB3_17 Depth=3
	global_load_dwordx2 v[14:15], v[12:13], off
	s_or_b64 exec, exec, s[30:31]
	s_and_b64 vcc, exec, s[20:21]
	s_waitcnt vmcnt(0)
	ds_write_b64 v19, v[14:15]
	s_cbranch_vccnz .LBB3_31
.LBB3_38:                               ;   in Loop: Header=BB3_17 Depth=3
	s_mov_b64 s[30:31], -1
	s_mov_b64 s[28:29], 0
                                        ; implicit-def: $vgpr12
	s_cbranch_execz .LBB3_36
.LBB3_39:                               ;   in Loop: Header=BB3_17 Depth=3
                                        ; implicit-def: $vgpr12
	s_and_saveexec_b64 s[30:31], s[6:7]
	s_cbranch_execz .LBB3_43
; %bb.40:                               ;   in Loop: Header=BB3_17 Depth=3
	v_add_u32_e32 v12, s43, v0
	v_cmp_gt_i32_e32 vcc, s39, v12
	s_mov_b64 s[34:35], s[28:29]
                                        ; implicit-def: $vgpr12
	s_and_saveexec_b64 s[36:37], vcc
; %bb.41:                               ;   in Loop: Header=BB3_17 Depth=3
	v_add_u32_e32 v12, s43, v7
	s_or_b64 s[34:35], s[28:29], exec
; %bb.42:                               ;   in Loop: Header=BB3_17 Depth=3
	s_or_b64 exec, exec, s[36:37]
	s_andn2_b64 s[28:29], s[28:29], exec
	s_and_b64 s[34:35], s[34:35], exec
	s_or_b64 s[28:29], s[28:29], s[34:35]
.LBB3_43:                               ;   in Loop: Header=BB3_17 Depth=3
	s_or_b64 exec, exec, s[30:31]
	s_mov_b64 s[30:31], 0
	v_pk_mov_b32 v[14:15], s[30:31], s[30:31] op_sel:[0,1]
	s_and_saveexec_b64 s[30:31], s[28:29]
	s_cbranch_execz .LBB3_16
.LBB3_44:                               ;   in Loop: Header=BB3_17 Depth=3
	v_ashrrev_i32_e32 v13, 31, v12
	v_lshlrev_b64 v[12:13], 3, v[12:13]
	v_mov_b32_e32 v14, s19
	v_add_co_u32_e32 v12, vcc, s18, v12
	v_addc_co_u32_e32 v13, vcc, v14, v13, vcc
	global_load_dwordx2 v[14:15], v[12:13], off
	s_branch .LBB3_16
.LBB3_45:                               ;   in Loop: Header=BB3_12 Depth=1
	v_cmp_gt_i32_e32 vcc, s39, v10
	s_and_b64 s[12:13], s[24:25], vcc
	s_and_saveexec_b64 s[6:7], s[12:13]
	s_cbranch_execz .LBB3_11
; %bb.46:                               ;   in Loop: Header=BB3_12 Depth=1
	v_add_u32_e32 v10, s40, v10
	v_ashrrev_i32_e32 v11, 31, v10
	s_and_saveexec_b64 s[12:13], s[2:3]
	s_xor_b64 s[12:13], exec, s[12:13]
	s_cbranch_execz .LBB3_51
; %bb.47:                               ;   in Loop: Header=BB3_12 Depth=1
	s_mov_b64 s[28:29], -1
	s_and_b64 vcc, exec, s[26:27]
	s_cbranch_vccz .LBB3_49
; %bb.48:                               ;   in Loop: Header=BB3_12 Depth=1
	v_mul_lo_u32 v7, v11, s14
	v_mul_lo_u32 v14, v10, s15
	v_mad_u64_u32 v[12:13], s[28:29], v10, s14, 0
	v_add3_u32 v13, v13, v14, v7
	v_lshlrev_b64 v[12:13], 3, v[12:13]
	v_add_co_u32_e32 v12, vcc, v22, v12
	v_addc_co_u32_e32 v13, vcc, v23, v13, vcc
	global_load_dwordx2 v[14:15], v[12:13], off
	v_mul_f64 v[28:29], v[2:3], v[8:9]
	s_mov_b64 s[28:29], 0
	s_waitcnt vmcnt(0)
	v_fmac_f64_e32 v[28:29], v[4:5], v[14:15]
	global_store_dwordx2 v[12:13], v[28:29], off
.LBB3_49:                               ;   in Loop: Header=BB3_12 Depth=1
	s_andn2_b64 vcc, exec, s[28:29]
	s_cbranch_vccnz .LBB3_51
; %bb.50:                               ;   in Loop: Header=BB3_12 Depth=1
	v_lshlrev_b64 v[10:11], 3, v[10:11]
	v_add_co_u32_e32 v10, vcc, v24, v10
	v_addc_co_u32_e32 v11, vcc, v25, v11, vcc
	global_load_dwordx2 v[12:13], v[10:11], off
	v_mul_f64 v[8:9], v[2:3], v[8:9]
	s_waitcnt vmcnt(0)
	v_fmac_f64_e32 v[8:9], v[4:5], v[12:13]
	global_store_dwordx2 v[10:11], v[8:9], off
                                        ; implicit-def: $vgpr8_vgpr9
                                        ; implicit-def: $vgpr10
.LBB3_51:                               ;   in Loop: Header=BB3_12 Depth=1
	s_andn2_saveexec_b64 s[12:13], s[12:13]
	s_cbranch_execz .LBB3_11
; %bb.52:                               ;   in Loop: Header=BB3_12 Depth=1
	v_mul_f64 v[8:9], v[2:3], v[8:9]
	s_mov_b64 s[12:13], -1
	s_and_b64 vcc, exec, s[26:27]
	s_cbranch_vccz .LBB3_54
; %bb.53:                               ;   in Loop: Header=BB3_12 Depth=1
	v_mul_lo_u32 v7, v11, s14
	v_mul_lo_u32 v14, v10, s15
	v_mad_u64_u32 v[12:13], s[12:13], v10, s14, 0
	v_add3_u32 v13, v13, v14, v7
	v_lshlrev_b64 v[12:13], 3, v[12:13]
	v_add_co_u32_e32 v12, vcc, v22, v12
	v_addc_co_u32_e32 v13, vcc, v23, v13, vcc
	global_store_dwordx2 v[12:13], v[8:9], off
	s_mov_b64 s[12:13], 0
.LBB3_54:                               ;   in Loop: Header=BB3_12 Depth=1
	s_andn2_b64 vcc, exec, s[12:13]
	s_cbranch_vccnz .LBB3_11
; %bb.55:                               ;   in Loop: Header=BB3_12 Depth=1
	v_lshlrev_b64 v[10:11], 3, v[10:11]
	v_add_co_u32_e32 v10, vcc, v24, v10
	v_addc_co_u32_e32 v11, vcc, v25, v11, vcc
	global_store_dwordx2 v[10:11], v[8:9], off
	s_branch .LBB3_11
.LBB3_56:
	s_endpgm
	.section	.rodata,"a",@progbits
	.p2align	6, 0x0
	.amdhsa_kernel _ZN9rocsparseL29bsrmm_general_blockdim_kernelILj32ELj32EiiddddEEvb20rocsparse_direction_T2_S2_llNS_24const_host_device_scalarIT6_EEPKT1_PKS2_PKT3_S2_PKT4_llS5_PT5_ll16rocsparse_order_21rocsparse_index_base_b
		.amdhsa_group_segment_fixed_size 16384
		.amdhsa_private_segment_fixed_size 0
		.amdhsa_kernarg_size 140
		.amdhsa_user_sgpr_count 6
		.amdhsa_user_sgpr_private_segment_buffer 1
		.amdhsa_user_sgpr_dispatch_ptr 0
		.amdhsa_user_sgpr_queue_ptr 0
		.amdhsa_user_sgpr_kernarg_segment_ptr 1
		.amdhsa_user_sgpr_dispatch_id 0
		.amdhsa_user_sgpr_flat_scratch_init 0
		.amdhsa_user_sgpr_kernarg_preload_length 0
		.amdhsa_user_sgpr_kernarg_preload_offset 0
		.amdhsa_user_sgpr_private_segment_size 0
		.amdhsa_uses_dynamic_stack 0
		.amdhsa_system_sgpr_private_segment_wavefront_offset 0
		.amdhsa_system_sgpr_workgroup_id_x 1
		.amdhsa_system_sgpr_workgroup_id_y 1
		.amdhsa_system_sgpr_workgroup_id_z 0
		.amdhsa_system_sgpr_workgroup_info 0
		.amdhsa_system_vgpr_workitem_id 1
		.amdhsa_next_free_vgpr 52
		.amdhsa_next_free_sgpr 46
		.amdhsa_accum_offset 52
		.amdhsa_reserve_vcc 1
		.amdhsa_reserve_flat_scratch 0
		.amdhsa_float_round_mode_32 0
		.amdhsa_float_round_mode_16_64 0
		.amdhsa_float_denorm_mode_32 3
		.amdhsa_float_denorm_mode_16_64 3
		.amdhsa_dx10_clamp 1
		.amdhsa_ieee_mode 1
		.amdhsa_fp16_overflow 0
		.amdhsa_tg_split 0
		.amdhsa_exception_fp_ieee_invalid_op 0
		.amdhsa_exception_fp_denorm_src 0
		.amdhsa_exception_fp_ieee_div_zero 0
		.amdhsa_exception_fp_ieee_overflow 0
		.amdhsa_exception_fp_ieee_underflow 0
		.amdhsa_exception_fp_ieee_inexact 0
		.amdhsa_exception_int_div_zero 0
	.end_amdhsa_kernel
	.section	.text._ZN9rocsparseL29bsrmm_general_blockdim_kernelILj32ELj32EiiddddEEvb20rocsparse_direction_T2_S2_llNS_24const_host_device_scalarIT6_EEPKT1_PKS2_PKT3_S2_PKT4_llS5_PT5_ll16rocsparse_order_21rocsparse_index_base_b,"axG",@progbits,_ZN9rocsparseL29bsrmm_general_blockdim_kernelILj32ELj32EiiddddEEvb20rocsparse_direction_T2_S2_llNS_24const_host_device_scalarIT6_EEPKT1_PKS2_PKT3_S2_PKT4_llS5_PT5_ll16rocsparse_order_21rocsparse_index_base_b,comdat
.Lfunc_end3:
	.size	_ZN9rocsparseL29bsrmm_general_blockdim_kernelILj32ELj32EiiddddEEvb20rocsparse_direction_T2_S2_llNS_24const_host_device_scalarIT6_EEPKT1_PKS2_PKT3_S2_PKT4_llS5_PT5_ll16rocsparse_order_21rocsparse_index_base_b, .Lfunc_end3-_ZN9rocsparseL29bsrmm_general_blockdim_kernelILj32ELj32EiiddddEEvb20rocsparse_direction_T2_S2_llNS_24const_host_device_scalarIT6_EEPKT1_PKS2_PKT3_S2_PKT4_llS5_PT5_ll16rocsparse_order_21rocsparse_index_base_b
                                        ; -- End function
	.section	.AMDGPU.csdata,"",@progbits
; Kernel info:
; codeLenInByte = 2088
; NumSgprs: 50
; NumVgprs: 52
; NumAgprs: 0
; TotalNumVgprs: 52
; ScratchSize: 0
; MemoryBound: 0
; FloatMode: 240
; IeeeMode: 1
; LDSByteSize: 16384 bytes/workgroup (compile time only)
; SGPRBlocks: 6
; VGPRBlocks: 6
; NumSGPRsForWavesPerEU: 50
; NumVGPRsForWavesPerEU: 52
; AccumOffset: 52
; Occupancy: 8
; WaveLimiterHint : 1
; COMPUTE_PGM_RSRC2:SCRATCH_EN: 0
; COMPUTE_PGM_RSRC2:USER_SGPR: 6
; COMPUTE_PGM_RSRC2:TRAP_HANDLER: 0
; COMPUTE_PGM_RSRC2:TGID_X_EN: 1
; COMPUTE_PGM_RSRC2:TGID_Y_EN: 1
; COMPUTE_PGM_RSRC2:TGID_Z_EN: 0
; COMPUTE_PGM_RSRC2:TIDIG_COMP_CNT: 1
; COMPUTE_PGM_RSRC3_GFX90A:ACCUM_OFFSET: 12
; COMPUTE_PGM_RSRC3_GFX90A:TG_SPLIT: 0
	.section	.text._ZN9rocsparseL29bsrmm_general_blockdim_kernelILj32ELj32EliddddEEvb20rocsparse_direction_T2_S2_llNS_24const_host_device_scalarIT6_EEPKT1_PKS2_PKT3_S2_PKT4_llS5_PT5_ll16rocsparse_order_21rocsparse_index_base_b,"axG",@progbits,_ZN9rocsparseL29bsrmm_general_blockdim_kernelILj32ELj32EliddddEEvb20rocsparse_direction_T2_S2_llNS_24const_host_device_scalarIT6_EEPKT1_PKS2_PKT3_S2_PKT4_llS5_PT5_ll16rocsparse_order_21rocsparse_index_base_b,comdat
	.globl	_ZN9rocsparseL29bsrmm_general_blockdim_kernelILj32ELj32EliddddEEvb20rocsparse_direction_T2_S2_llNS_24const_host_device_scalarIT6_EEPKT1_PKS2_PKT3_S2_PKT4_llS5_PT5_ll16rocsparse_order_21rocsparse_index_base_b ; -- Begin function _ZN9rocsparseL29bsrmm_general_blockdim_kernelILj32ELj32EliddddEEvb20rocsparse_direction_T2_S2_llNS_24const_host_device_scalarIT6_EEPKT1_PKS2_PKT3_S2_PKT4_llS5_PT5_ll16rocsparse_order_21rocsparse_index_base_b
	.p2align	8
	.type	_ZN9rocsparseL29bsrmm_general_blockdim_kernelILj32ELj32EliddddEEvb20rocsparse_direction_T2_S2_llNS_24const_host_device_scalarIT6_EEPKT1_PKS2_PKT3_S2_PKT4_llS5_PT5_ll16rocsparse_order_21rocsparse_index_base_b,@function
_ZN9rocsparseL29bsrmm_general_blockdim_kernelILj32ELj32EliddddEEvb20rocsparse_direction_T2_S2_llNS_24const_host_device_scalarIT6_EEPKT1_PKS2_PKT3_S2_PKT4_llS5_PT5_ll16rocsparse_order_21rocsparse_index_base_b: ; @_ZN9rocsparseL29bsrmm_general_blockdim_kernelILj32ELj32EliddddEEvb20rocsparse_direction_T2_S2_llNS_24const_host_device_scalarIT6_EEPKT1_PKS2_PKT3_S2_PKT4_llS5_PT5_ll16rocsparse_order_21rocsparse_index_base_b
; %bb.0:
	s_load_dwordx4 s[8:11], s[4:5], 0x80
	s_load_dwordx2 s[12:13], s[4:5], 0x20
	s_load_dwordx2 s[2:3], s[4:5], 0x60
	s_mov_b32 s0, s7
	s_waitcnt lgkmcnt(0)
	s_bitcmp1_b32 s10, 0
	s_cselect_b64 s[14:15], -1, 0
	s_xor_b64 s[10:11], s[14:15], -1
	s_and_b64 vcc, exec, s[14:15]
	v_pk_mov_b32 v[2:3], s[12:13], s[12:13] op_sel:[0,1]
	s_cbranch_vccnz .LBB4_2
; %bb.1:
	v_pk_mov_b32 v[2:3], s[12:13], s[12:13] op_sel:[0,1]
	flat_load_dwordx2 v[2:3], v[2:3]
.LBB4_2:
	s_andn2_b64 vcc, exec, s[10:11]
	v_pk_mov_b32 v[4:5], s[2:3], s[2:3] op_sel:[0,1]
	s_cbranch_vccnz .LBB4_4
; %bb.3:
	v_pk_mov_b32 v[4:5], s[2:3], s[2:3] op_sel:[0,1]
	flat_load_dwordx2 v[4:5], v[4:5]
.LBB4_4:
	s_waitcnt vmcnt(0) lgkmcnt(0)
	v_cmp_neq_f64_e32 vcc, 0, v[2:3]
	v_cmp_neq_f64_e64 s[2:3], 1.0, v[4:5]
	s_mov_b64 s[10:11], 0
	s_or_b64 s[2:3], vcc, s[2:3]
	s_and_saveexec_b64 s[12:13], s[2:3]
	s_cbranch_execz .LBB4_52
; %bb.5:
	s_load_dwordx4 s[24:27], s[4:5], 0x0
	s_load_dwordx2 s[12:13], s[4:5], 0x28
	s_waitcnt lgkmcnt(0)
	s_cmp_lt_i32 s6, s26
	s_cselect_b64 s[2:3], -1, 0
	s_cmp_ge_i32 s6, s26
	s_cbranch_scc0 .LBB4_8
; %bb.6:
	s_andn2_b64 vcc, exec, s[2:3]
	s_mov_b64 s[28:29], 0
	s_cbranch_vccz .LBB4_9
.LBB4_7:
	s_load_dword s33, s[4:5], 0x40
	s_waitcnt lgkmcnt(0)
	s_cmp_lt_i32 s33, 1
	s_cbranch_scc0 .LBB4_10
	s_branch .LBB4_52
.LBB4_8:
	s_ashr_i32 s7, s6, 31
	s_lshl_b64 s[10:11], s[6:7], 3
	s_add_u32 s10, s12, s10
	s_addc_u32 s11, s13, s11
	s_load_dwordx2 s[10:11], s[10:11], 0x0
	s_waitcnt lgkmcnt(0)
	s_sub_u32 s10, s10, s9
	s_subb_u32 s11, s11, 0
	s_andn2_b64 vcc, exec, s[2:3]
	s_mov_b64 s[28:29], 0
	s_cbranch_vccnz .LBB4_7
.LBB4_9:
	s_ashr_i32 s7, s6, 31
	s_lshl_b64 s[14:15], s[6:7], 3
	s_add_u32 s12, s12, s14
	s_addc_u32 s13, s13, s15
	s_load_dwordx2 s[12:13], s[12:13], 0x8
	s_waitcnt lgkmcnt(0)
	s_sub_u32 s28, s12, s9
	s_subb_u32 s29, s13, 0
	s_load_dword s33, s[4:5], 0x40
	s_waitcnt lgkmcnt(0)
	s_cmp_lt_i32 s33, 1
	s_cbranch_scc1 .LBB4_52
.LBB4_10:
	s_load_dwordx4 s[12:15], s[4:5], 0x68
	s_load_dwordx4 s[16:19], s[4:5], 0x30
	;; [unrolled: 1-line block ×3, first 2 shown]
	v_bfe_u32 v13, v0, 10, 10
	v_and_b32_e32 v12, 0x3ff, v0
	s_bitcmp1_b32 s24, 0
	v_lshl_add_u32 v0, s0, 5, v13
	s_cselect_b64 s[4:5], -1, 0
	v_ashrrev_i32_e32 v1, 31, v0
	v_lshlrev_b32_e32 v10, 5, v13
	s_xor_b64 s[30:31], s[4:5], -1
	v_lshlrev_b64 v[8:9], 3, v[0:1]
	v_add_lshl_u32 v16, v10, v12, 3
	s_waitcnt lgkmcnt(0)
	v_mul_lo_u32 v18, v1, s22
	v_mul_lo_u32 v20, v0, s23
	v_mad_u64_u32 v[10:11], s[4:5], v0, s22, 0
	v_mov_b32_e32 v19, s21
	v_add_co_u32_e32 v14, vcc, s20, v8
	v_add3_u32 v11, v11, v20, v18
	v_addc_co_u32_e32 v15, vcc, v19, v9, vcc
	v_lshlrev_b64 v[10:11], 3, v[10:11]
	v_add_co_u32_e32 v18, vcc, s20, v10
	v_addc_co_u32_e32 v19, vcc, v19, v11, vcc
	v_mov_b32_e32 v10, s13
	v_add_co_u32_e32 v20, vcc, s12, v8
	v_cmp_gt_i32_e64 s[0:1], s27, v0
	v_addc_co_u32_e32 v21, vcc, v10, v9, vcc
	v_mul_lo_u32 v8, v1, s14
	v_mul_lo_u32 v9, v0, s15
	v_mad_u64_u32 v[0:1], s[4:5], v0, s14, 0
	v_add3_u32 v1, v1, v9, v8
	v_lshlrev_b64 v[0:1], 3, v[0:1]
	v_add_co_u32_e32 v22, vcc, s12, v0
	v_pk_mov_b32 v[6:7], s[28:29], s[28:29] op_sel:[0,1]
	s_cmp_lg_u32 s25, 0
	v_addc_co_u32_e32 v23, vcc, v10, v1, vcc
	s_cselect_b64 s[20:21], -1, 0
	s_and_b64 s[24:25], s[2:3], s[0:1]
	v_mov_b32_e32 v0, 0x2000
	v_cmp_lt_i64_e32 vcc, s[10:11], v[6:7]
	s_cmp_lg_u32 s8, 1
	v_lshl_add_u32 v25, v13, 8, v0
	v_cndmask_b32_e64 v0, 0, 1, vcc
	s_mul_i32 s42, s6, s33
	v_add_u32_e32 v17, 0x2000, v16
	s_mov_b32 s43, 0
	s_mul_i32 s44, s33, s33
	v_cmp_neq_f64_e64 s[2:3], 0, v[4:5]
	s_cselect_b64 s[26:27], -1, 0
	v_lshlrev_b32_e32 v24, 3, v12
	v_cmp_ne_u32_e64 s[4:5], 1, v0
	s_branch .LBB4_12
.LBB4_11:                               ;   in Loop: Header=BB4_12 Depth=1
	s_or_b64 exec, exec, s[6:7]
	s_add_i32 s43, s43, 32
	s_cmp_lt_i32 s43, s33
	s_cbranch_scc0 .LBB4_52
.LBB4_12:                               ; =>This Loop Header: Depth=1
                                        ;     Child Loop BB4_15 Depth 2
                                        ;       Child Loop BB4_17 Depth 3
	v_add_u32_e32 v26, s43, v12
	s_and_b64 vcc, exec, s[4:5]
	v_pk_mov_b32 v[0:1], 0, 0
	v_cmp_gt_i32_e64 s[6:7], s33, v26
	s_cbranch_vccnz .LBB4_41
; %bb.13:                               ;   in Loop: Header=BB4_12 Depth=1
	v_mul_lo_u32 v27, v26, s33
	v_pk_mov_b32 v[0:1], 0, 0
	s_mov_b64 s[12:13], s[10:11]
	s_branch .LBB4_15
.LBB4_14:                               ;   in Loop: Header=BB4_15 Depth=2
	s_add_u32 s12, s12, 1
	s_addc_u32 s13, s13, 0
	v_pk_mov_b32 v[6:7], s[28:29], s[28:29] op_sel:[0,1]
	v_cmp_ge_i64_e32 vcc, s[12:13], v[6:7]
	s_cbranch_vccnz .LBB4_41
.LBB4_15:                               ;   Parent Loop BB4_12 Depth=1
                                        ; =>  This Loop Header: Depth=2
                                        ;       Child Loop BB4_17 Depth 3
	s_lshl_b64 s[34:35], s[12:13], 2
	s_add_u32 s34, s16, s34
	s_addc_u32 s35, s17, s35
	s_load_dword s8, s[34:35], 0x0
	s_mul_i32 s35, s13, s44
	s_mul_hi_u32 s36, s12, s44
	s_mul_i32 s34, s12, s44
	s_add_i32 s35, s36, s35
	s_waitcnt lgkmcnt(0)
	s_sub_i32 s8, s8, s9
	s_lshl_b64 s[34:35], s[34:35], 3
	s_mul_i32 s36, s8, s33
	s_add_u32 s8, s18, s34
	s_addc_u32 s45, s19, s35
	v_add_u32_e32 v28, s36, v12
	s_mov_b32 s46, 0
	s_branch .LBB4_17
.LBB4_16:                               ;   in Loop: Header=BB4_17 Depth=3
	s_or_b64 exec, exec, s[34:35]
	s_waitcnt vmcnt(0)
	ds_write_b64 v16, v[10:11]
	s_waitcnt lgkmcnt(0)
	s_barrier
	ds_read2_b64 v[6:9], v24 offset1:32
	ds_read_b128 v[30:33], v25
	ds_read_b128 v[34:37], v25 offset:16
	ds_read2_b64 v[38:41], v24 offset0:64 offset1:96
	ds_read_b128 v[42:45], v25 offset:32
	ds_read_b128 v[46:49], v25 offset:48
	ds_read2_b64 v[50:53], v24 offset0:128 offset1:160
	s_waitcnt lgkmcnt(5)
	v_fmac_f64_e32 v[0:1], v[6:7], v[30:31]
	v_fmac_f64_e32 v[0:1], v[8:9], v[32:33]
	ds_read2_b64 v[6:9], v24 offset0:192 offset1:224
	s_waitcnt lgkmcnt(4)
	v_fmac_f64_e32 v[0:1], v[38:39], v[34:35]
	v_fmac_f64_e32 v[0:1], v[40:41], v[36:37]
	s_waitcnt lgkmcnt(1)
	v_fmac_f64_e32 v[0:1], v[50:51], v[42:43]
	v_add_u32_e32 v10, 0x800, v24
	v_fmac_f64_e32 v[0:1], v[52:53], v[44:45]
	ds_read2_b64 v[30:33], v10 offset1:32
	ds_read_b128 v[34:37], v25 offset:64
	s_waitcnt lgkmcnt(2)
	v_fmac_f64_e32 v[0:1], v[6:7], v[46:47]
	v_fmac_f64_e32 v[0:1], v[8:9], v[48:49]
	ds_read2_b64 v[6:9], v10 offset0:64 offset1:96
	ds_read_b128 v[38:41], v25 offset:80
	ds_read2_b64 v[42:45], v10 offset0:128 offset1:160
	ds_read_b128 v[46:49], v25 offset:96
	s_waitcnt lgkmcnt(4)
	v_fmac_f64_e32 v[0:1], v[30:31], v[34:35]
	v_fmac_f64_e32 v[0:1], v[32:33], v[36:37]
	ds_read2_b64 v[30:33], v10 offset0:192 offset1:224
	s_waitcnt lgkmcnt(3)
	v_fmac_f64_e32 v[0:1], v[6:7], v[38:39]
	v_fmac_f64_e32 v[0:1], v[8:9], v[40:41]
	ds_read_b128 v[6:9], v25 offset:112
	s_waitcnt lgkmcnt(2)
	v_fmac_f64_e32 v[0:1], v[42:43], v[46:47]
	v_add_u32_e32 v10, 0x1000, v24
	v_fmac_f64_e32 v[0:1], v[44:45], v[48:49]
	ds_read2_b64 v[34:37], v10 offset1:32
	ds_read_b128 v[38:41], v25 offset:128
	s_waitcnt lgkmcnt(2)
	v_fmac_f64_e32 v[0:1], v[30:31], v[6:7]
	v_fmac_f64_e32 v[0:1], v[32:33], v[8:9]
	ds_read2_b64 v[6:9], v10 offset0:64 offset1:96
	ds_read_b128 v[30:33], v25 offset:144
	ds_read2_b64 v[42:45], v10 offset0:128 offset1:160
	ds_read_b128 v[46:49], v25 offset:160
	s_waitcnt lgkmcnt(4)
	v_fmac_f64_e32 v[0:1], v[34:35], v[38:39]
	v_fmac_f64_e32 v[0:1], v[36:37], v[40:41]
	s_add_i32 s46, s46, 32
	s_waitcnt lgkmcnt(2)
	v_fmac_f64_e32 v[0:1], v[6:7], v[30:31]
	v_fmac_f64_e32 v[0:1], v[8:9], v[32:33]
	ds_read_b128 v[6:9], v25 offset:176
	ds_read2_b64 v[30:33], v10 offset0:192 offset1:224
	s_waitcnt lgkmcnt(2)
	v_fmac_f64_e32 v[0:1], v[42:43], v[46:47]
	v_add_u32_e32 v10, 0x1800, v24
	ds_read2_b64 v[34:37], v10 offset1:32
	ds_read_b128 v[38:41], v25 offset:192
	v_fmac_f64_e32 v[0:1], v[44:45], v[48:49]
	s_waitcnt lgkmcnt(2)
	v_fmac_f64_e32 v[0:1], v[30:31], v[6:7]
	v_fmac_f64_e32 v[0:1], v[32:33], v[8:9]
	ds_read_b128 v[6:9], v25 offset:208
	s_waitcnt lgkmcnt(1)
	v_fmac_f64_e32 v[0:1], v[34:35], v[38:39]
	v_fmac_f64_e32 v[0:1], v[36:37], v[40:41]
	ds_read2_b64 v[30:33], v10 offset0:64 offset1:96
	ds_read2_b64 v[34:37], v10 offset0:128 offset1:160
	ds_read_b128 v[38:41], v25 offset:224
	ds_read2_b64 v[42:45], v10 offset0:192 offset1:224
	ds_read_b128 v[46:49], v25 offset:240
	s_cmp_ge_i32 s46, s33
	s_waitcnt lgkmcnt(4)
	v_fmac_f64_e32 v[0:1], v[30:31], v[6:7]
	v_fmac_f64_e32 v[0:1], v[32:33], v[8:9]
	s_waitcnt lgkmcnt(2)
	v_fmac_f64_e32 v[0:1], v[34:35], v[38:39]
	v_fmac_f64_e32 v[0:1], v[36:37], v[40:41]
	;; [unrolled: 3-line block ×3, first 2 shown]
	s_barrier
	s_cbranch_scc1 .LBB4_14
.LBB4_17:                               ;   Parent Loop BB4_12 Depth=1
                                        ;     Parent Loop BB4_15 Depth=2
                                        ; =>    This Inner Loop Header: Depth=3
	s_and_b64 vcc, exec, s[30:31]
	s_cbranch_vccz .LBB4_23
; %bb.18:                               ;   in Loop: Header=BB4_17 Depth=3
	s_mov_b64 s[36:37], 0
	s_mov_b64 s[34:35], 0
                                        ; implicit-def: $vgpr6_vgpr7
	s_and_saveexec_b64 s[38:39], s[0:1]
	s_cbranch_execz .LBB4_22
; %bb.19:                               ;   in Loop: Header=BB4_17 Depth=3
	v_add_u32_e32 v6, s46, v12
	v_cmp_gt_i32_e32 vcc, s33, v6
                                        ; implicit-def: $vgpr6_vgpr7
	s_and_saveexec_b64 s[40:41], vcc
	s_xor_b64 s[40:41], exec, s[40:41]
; %bb.20:                               ;   in Loop: Header=BB4_17 Depth=3
	v_add_u32_e32 v6, s46, v28
	v_ashrrev_i32_e32 v7, 31, v6
	v_mul_lo_u32 v8, v7, s22
	v_mul_lo_u32 v9, v6, s23
	v_mad_u64_u32 v[6:7], s[48:49], v6, s22, 0
	v_add3_u32 v7, v7, v9, v8
	v_lshlrev_b64 v[6:7], 3, v[6:7]
	v_add_co_u32_e32 v6, vcc, v14, v6
	s_mov_b64 s[34:35], exec
	v_addc_co_u32_e32 v7, vcc, v15, v7, vcc
; %bb.21:                               ;   in Loop: Header=BB4_17 Depth=3
	s_or_b64 exec, exec, s[40:41]
	s_and_b64 s[34:35], s[34:35], exec
.LBB4_22:                               ;   in Loop: Header=BB4_17 Depth=3
	s_or_b64 exec, exec, s[38:39]
	s_and_b64 vcc, exec, s[36:37]
	s_cbranch_vccnz .LBB4_24
	s_branch .LBB4_29
.LBB4_23:                               ;   in Loop: Header=BB4_17 Depth=3
	s_mov_b64 s[36:37], -1
	s_mov_b64 s[34:35], 0
                                        ; implicit-def: $vgpr6_vgpr7
	s_cbranch_execz .LBB4_29
.LBB4_24:                               ;   in Loop: Header=BB4_17 Depth=3
                                        ; implicit-def: $vgpr6_vgpr7
	s_and_saveexec_b64 s[36:37], s[0:1]
	s_cbranch_execz .LBB4_28
; %bb.25:                               ;   in Loop: Header=BB4_17 Depth=3
	v_add_u32_e32 v6, s46, v12
	v_cmp_gt_i32_e32 vcc, s33, v6
	s_mov_b64 s[40:41], s[34:35]
                                        ; implicit-def: $vgpr6_vgpr7
	s_and_saveexec_b64 s[38:39], vcc
; %bb.26:                               ;   in Loop: Header=BB4_17 Depth=3
	v_add_u32_e32 v6, s46, v28
	v_ashrrev_i32_e32 v7, 31, v6
	v_lshlrev_b64 v[6:7], 3, v[6:7]
	v_add_co_u32_e32 v6, vcc, v18, v6
	v_addc_co_u32_e32 v7, vcc, v19, v7, vcc
	s_or_b64 s[40:41], s[34:35], exec
; %bb.27:                               ;   in Loop: Header=BB4_17 Depth=3
	s_or_b64 exec, exec, s[38:39]
	s_andn2_b64 s[34:35], s[34:35], exec
	s_and_b64 s[38:39], s[40:41], exec
	s_or_b64 s[34:35], s[34:35], s[38:39]
.LBB4_28:                               ;   in Loop: Header=BB4_17 Depth=3
	s_or_b64 exec, exec, s[36:37]
	s_mov_b64 s[36:37], 0
.LBB4_29:                               ;   in Loop: Header=BB4_17 Depth=3
	v_pk_mov_b32 v[8:9], s[36:37], s[36:37] op_sel:[0,1]
	s_and_saveexec_b64 s[36:37], s[34:35]
	s_cbranch_execnz .LBB4_39
; %bb.30:                               ;   in Loop: Header=BB4_17 Depth=3
	s_or_b64 exec, exec, s[36:37]
	s_and_b64 vcc, exec, s[20:21]
	ds_write_b64 v17, v[8:9]
	s_cbranch_vccz .LBB4_40
.LBB4_31:                               ;   in Loop: Header=BB4_17 Depth=3
	s_mov_b64 s[34:35], 0
	s_mov_b64 s[36:37], 0
                                        ; implicit-def: $vgpr6
	s_and_saveexec_b64 s[38:39], s[6:7]
	s_cbranch_execz .LBB4_35
; %bb.32:                               ;   in Loop: Header=BB4_17 Depth=3
	v_add_u32_e32 v7, s46, v13
	v_cmp_gt_i32_e32 vcc, s33, v7
                                        ; implicit-def: $vgpr6
	s_and_saveexec_b64 s[40:41], vcc
	s_xor_b64 s[40:41], exec, s[40:41]
; %bb.33:                               ;   in Loop: Header=BB4_17 Depth=3
	s_mov_b64 s[36:37], exec
	v_mul_lo_u32 v6, v7, s33
; %bb.34:                               ;   in Loop: Header=BB4_17 Depth=3
	s_or_b64 exec, exec, s[40:41]
	s_and_b64 s[36:37], s[36:37], exec
.LBB4_35:                               ;   in Loop: Header=BB4_17 Depth=3
	s_or_b64 exec, exec, s[38:39]
	v_mov_b32_e32 v8, v26
	s_and_b64 vcc, exec, s[34:35]
	s_cbranch_vccz .LBB4_37
.LBB4_36:                               ;   in Loop: Header=BB4_17 Depth=3
	v_add_u32_e32 v6, s46, v13
	v_cmp_gt_i32_e32 vcc, s33, v6
	s_and_b64 s[38:39], s[6:7], vcc
	s_andn2_b64 s[36:37], s[36:37], exec
	s_and_b64 s[38:39], s[38:39], exec
	s_mov_b64 s[34:35], 0
	s_or_b64 s[36:37], s[36:37], s[38:39]
	v_mov_b32_e32 v8, v27
.LBB4_37:                               ;   in Loop: Header=BB4_17 Depth=3
	v_pk_mov_b32 v[10:11], s[34:35], s[34:35] op_sel:[0,1]
	s_and_saveexec_b64 s[34:35], s[36:37]
	s_cbranch_execz .LBB4_16
; %bb.38:                               ;   in Loop: Header=BB4_17 Depth=3
	v_ashrrev_i32_e32 v9, 31, v8
	v_lshlrev_b64 v[8:9], 3, v[8:9]
	v_mov_b32_e32 v7, s45
	v_add_co_u32_e32 v8, vcc, s8, v8
	v_addc_co_u32_e32 v9, vcc, v7, v9, vcc
	v_ashrrev_i32_e32 v7, 31, v6
	v_lshlrev_b64 v[6:7], 3, v[6:7]
	v_add_co_u32_e32 v6, vcc, v8, v6
	v_addc_co_u32_e32 v7, vcc, v9, v7, vcc
	global_load_dwordx2 v[10:11], v[6:7], off
	s_branch .LBB4_16
.LBB4_39:                               ;   in Loop: Header=BB4_17 Depth=3
	global_load_dwordx2 v[8:9], v[6:7], off
	s_or_b64 exec, exec, s[36:37]
	s_and_b64 vcc, exec, s[20:21]
	s_waitcnt vmcnt(0)
	ds_write_b64 v17, v[8:9]
	s_cbranch_vccnz .LBB4_31
.LBB4_40:                               ;   in Loop: Header=BB4_17 Depth=3
	s_mov_b64 s[34:35], -1
	s_mov_b64 s[36:37], 0
                                        ; implicit-def: $vgpr8
                                        ; implicit-def: $vgpr6
	s_cbranch_execnz .LBB4_36
	s_branch .LBB4_37
.LBB4_41:                               ;   in Loop: Header=BB4_12 Depth=1
	v_cmp_gt_i32_e32 vcc, s33, v26
	s_and_b64 s[12:13], s[24:25], vcc
	s_and_saveexec_b64 s[6:7], s[12:13]
	s_cbranch_execz .LBB4_11
; %bb.42:                               ;   in Loop: Header=BB4_12 Depth=1
	v_add_u32_e32 v6, s42, v26
	v_ashrrev_i32_e32 v7, 31, v6
	s_and_saveexec_b64 s[12:13], s[2:3]
	s_xor_b64 s[12:13], exec, s[12:13]
	s_cbranch_execz .LBB4_47
; %bb.43:                               ;   in Loop: Header=BB4_12 Depth=1
	s_mov_b64 s[34:35], -1
	s_and_b64 vcc, exec, s[26:27]
	s_cbranch_vccz .LBB4_45
; %bb.44:                               ;   in Loop: Header=BB4_12 Depth=1
	v_mul_lo_u32 v10, v7, s14
	v_mul_lo_u32 v11, v6, s15
	v_mad_u64_u32 v[8:9], s[34:35], v6, s14, 0
	v_add3_u32 v9, v9, v11, v10
	v_lshlrev_b64 v[8:9], 3, v[8:9]
	v_add_co_u32_e32 v8, vcc, v20, v8
	v_addc_co_u32_e32 v9, vcc, v21, v9, vcc
	global_load_dwordx2 v[10:11], v[8:9], off
	v_mul_f64 v[26:27], v[2:3], v[0:1]
	s_mov_b64 s[34:35], 0
	s_waitcnt vmcnt(0)
	v_fmac_f64_e32 v[26:27], v[4:5], v[10:11]
	global_store_dwordx2 v[8:9], v[26:27], off
.LBB4_45:                               ;   in Loop: Header=BB4_12 Depth=1
	s_andn2_b64 vcc, exec, s[34:35]
	s_cbranch_vccnz .LBB4_47
; %bb.46:                               ;   in Loop: Header=BB4_12 Depth=1
	v_lshlrev_b64 v[6:7], 3, v[6:7]
	v_add_co_u32_e32 v6, vcc, v22, v6
	v_addc_co_u32_e32 v7, vcc, v23, v7, vcc
	global_load_dwordx2 v[8:9], v[6:7], off
	v_mul_f64 v[0:1], v[2:3], v[0:1]
	s_waitcnt vmcnt(0)
	v_fmac_f64_e32 v[0:1], v[4:5], v[8:9]
	global_store_dwordx2 v[6:7], v[0:1], off
                                        ; implicit-def: $vgpr0_vgpr1
                                        ; implicit-def: $vgpr6
.LBB4_47:                               ;   in Loop: Header=BB4_12 Depth=1
	s_andn2_saveexec_b64 s[12:13], s[12:13]
	s_cbranch_execz .LBB4_11
; %bb.48:                               ;   in Loop: Header=BB4_12 Depth=1
	v_mul_f64 v[0:1], v[2:3], v[0:1]
	s_mov_b64 s[12:13], -1
	s_and_b64 vcc, exec, s[26:27]
	s_cbranch_vccz .LBB4_50
; %bb.49:                               ;   in Loop: Header=BB4_12 Depth=1
	v_mul_lo_u32 v10, v7, s14
	v_mul_lo_u32 v11, v6, s15
	v_mad_u64_u32 v[8:9], s[12:13], v6, s14, 0
	v_add3_u32 v9, v9, v11, v10
	v_lshlrev_b64 v[8:9], 3, v[8:9]
	v_add_co_u32_e32 v8, vcc, v20, v8
	v_addc_co_u32_e32 v9, vcc, v21, v9, vcc
	global_store_dwordx2 v[8:9], v[0:1], off
	s_mov_b64 s[12:13], 0
.LBB4_50:                               ;   in Loop: Header=BB4_12 Depth=1
	s_andn2_b64 vcc, exec, s[12:13]
	s_cbranch_vccnz .LBB4_11
; %bb.51:                               ;   in Loop: Header=BB4_12 Depth=1
	v_lshlrev_b64 v[6:7], 3, v[6:7]
	v_add_co_u32_e32 v6, vcc, v22, v6
	v_addc_co_u32_e32 v7, vcc, v23, v7, vcc
	global_store_dwordx2 v[6:7], v[0:1], off
	s_branch .LBB4_11
.LBB4_52:
	s_endpgm
	.section	.rodata,"a",@progbits
	.p2align	6, 0x0
	.amdhsa_kernel _ZN9rocsparseL29bsrmm_general_blockdim_kernelILj32ELj32EliddddEEvb20rocsparse_direction_T2_S2_llNS_24const_host_device_scalarIT6_EEPKT1_PKS2_PKT3_S2_PKT4_llS5_PT5_ll16rocsparse_order_21rocsparse_index_base_b
		.amdhsa_group_segment_fixed_size 16384
		.amdhsa_private_segment_fixed_size 0
		.amdhsa_kernarg_size 140
		.amdhsa_user_sgpr_count 6
		.amdhsa_user_sgpr_private_segment_buffer 1
		.amdhsa_user_sgpr_dispatch_ptr 0
		.amdhsa_user_sgpr_queue_ptr 0
		.amdhsa_user_sgpr_kernarg_segment_ptr 1
		.amdhsa_user_sgpr_dispatch_id 0
		.amdhsa_user_sgpr_flat_scratch_init 0
		.amdhsa_user_sgpr_kernarg_preload_length 0
		.amdhsa_user_sgpr_kernarg_preload_offset 0
		.amdhsa_user_sgpr_private_segment_size 0
		.amdhsa_uses_dynamic_stack 0
		.amdhsa_system_sgpr_private_segment_wavefront_offset 0
		.amdhsa_system_sgpr_workgroup_id_x 1
		.amdhsa_system_sgpr_workgroup_id_y 1
		.amdhsa_system_sgpr_workgroup_id_z 0
		.amdhsa_system_sgpr_workgroup_info 0
		.amdhsa_system_vgpr_workitem_id 1
		.amdhsa_next_free_vgpr 54
		.amdhsa_next_free_sgpr 50
		.amdhsa_accum_offset 56
		.amdhsa_reserve_vcc 1
		.amdhsa_reserve_flat_scratch 0
		.amdhsa_float_round_mode_32 0
		.amdhsa_float_round_mode_16_64 0
		.amdhsa_float_denorm_mode_32 3
		.amdhsa_float_denorm_mode_16_64 3
		.amdhsa_dx10_clamp 1
		.amdhsa_ieee_mode 1
		.amdhsa_fp16_overflow 0
		.amdhsa_tg_split 0
		.amdhsa_exception_fp_ieee_invalid_op 0
		.amdhsa_exception_fp_denorm_src 0
		.amdhsa_exception_fp_ieee_div_zero 0
		.amdhsa_exception_fp_ieee_overflow 0
		.amdhsa_exception_fp_ieee_underflow 0
		.amdhsa_exception_fp_ieee_inexact 0
		.amdhsa_exception_int_div_zero 0
	.end_amdhsa_kernel
	.section	.text._ZN9rocsparseL29bsrmm_general_blockdim_kernelILj32ELj32EliddddEEvb20rocsparse_direction_T2_S2_llNS_24const_host_device_scalarIT6_EEPKT1_PKS2_PKT3_S2_PKT4_llS5_PT5_ll16rocsparse_order_21rocsparse_index_base_b,"axG",@progbits,_ZN9rocsparseL29bsrmm_general_blockdim_kernelILj32ELj32EliddddEEvb20rocsparse_direction_T2_S2_llNS_24const_host_device_scalarIT6_EEPKT1_PKS2_PKT3_S2_PKT4_llS5_PT5_ll16rocsparse_order_21rocsparse_index_base_b,comdat
.Lfunc_end4:
	.size	_ZN9rocsparseL29bsrmm_general_blockdim_kernelILj32ELj32EliddddEEvb20rocsparse_direction_T2_S2_llNS_24const_host_device_scalarIT6_EEPKT1_PKS2_PKT3_S2_PKT4_llS5_PT5_ll16rocsparse_order_21rocsparse_index_base_b, .Lfunc_end4-_ZN9rocsparseL29bsrmm_general_blockdim_kernelILj32ELj32EliddddEEvb20rocsparse_direction_T2_S2_llNS_24const_host_device_scalarIT6_EEPKT1_PKS2_PKT3_S2_PKT4_llS5_PT5_ll16rocsparse_order_21rocsparse_index_base_b
                                        ; -- End function
	.section	.AMDGPU.csdata,"",@progbits
; Kernel info:
; codeLenInByte = 2092
; NumSgprs: 54
; NumVgprs: 54
; NumAgprs: 0
; TotalNumVgprs: 54
; ScratchSize: 0
; MemoryBound: 0
; FloatMode: 240
; IeeeMode: 1
; LDSByteSize: 16384 bytes/workgroup (compile time only)
; SGPRBlocks: 6
; VGPRBlocks: 6
; NumSGPRsForWavesPerEU: 54
; NumVGPRsForWavesPerEU: 54
; AccumOffset: 56
; Occupancy: 8
; WaveLimiterHint : 1
; COMPUTE_PGM_RSRC2:SCRATCH_EN: 0
; COMPUTE_PGM_RSRC2:USER_SGPR: 6
; COMPUTE_PGM_RSRC2:TRAP_HANDLER: 0
; COMPUTE_PGM_RSRC2:TGID_X_EN: 1
; COMPUTE_PGM_RSRC2:TGID_Y_EN: 1
; COMPUTE_PGM_RSRC2:TGID_Z_EN: 0
; COMPUTE_PGM_RSRC2:TIDIG_COMP_CNT: 1
; COMPUTE_PGM_RSRC3_GFX90A:ACCUM_OFFSET: 13
; COMPUTE_PGM_RSRC3_GFX90A:TG_SPLIT: 0
	.section	.text._ZN9rocsparseL29bsrmm_general_blockdim_kernelILj32ELj32EllddddEEvb20rocsparse_direction_T2_S2_llNS_24const_host_device_scalarIT6_EEPKT1_PKS2_PKT3_S2_PKT4_llS5_PT5_ll16rocsparse_order_21rocsparse_index_base_b,"axG",@progbits,_ZN9rocsparseL29bsrmm_general_blockdim_kernelILj32ELj32EllddddEEvb20rocsparse_direction_T2_S2_llNS_24const_host_device_scalarIT6_EEPKT1_PKS2_PKT3_S2_PKT4_llS5_PT5_ll16rocsparse_order_21rocsparse_index_base_b,comdat
	.globl	_ZN9rocsparseL29bsrmm_general_blockdim_kernelILj32ELj32EllddddEEvb20rocsparse_direction_T2_S2_llNS_24const_host_device_scalarIT6_EEPKT1_PKS2_PKT3_S2_PKT4_llS5_PT5_ll16rocsparse_order_21rocsparse_index_base_b ; -- Begin function _ZN9rocsparseL29bsrmm_general_blockdim_kernelILj32ELj32EllddddEEvb20rocsparse_direction_T2_S2_llNS_24const_host_device_scalarIT6_EEPKT1_PKS2_PKT3_S2_PKT4_llS5_PT5_ll16rocsparse_order_21rocsparse_index_base_b
	.p2align	8
	.type	_ZN9rocsparseL29bsrmm_general_blockdim_kernelILj32ELj32EllddddEEvb20rocsparse_direction_T2_S2_llNS_24const_host_device_scalarIT6_EEPKT1_PKS2_PKT3_S2_PKT4_llS5_PT5_ll16rocsparse_order_21rocsparse_index_base_b,@function
_ZN9rocsparseL29bsrmm_general_blockdim_kernelILj32ELj32EllddddEEvb20rocsparse_direction_T2_S2_llNS_24const_host_device_scalarIT6_EEPKT1_PKS2_PKT3_S2_PKT4_llS5_PT5_ll16rocsparse_order_21rocsparse_index_base_b: ; @_ZN9rocsparseL29bsrmm_general_blockdim_kernelILj32ELj32EllddddEEvb20rocsparse_direction_T2_S2_llNS_24const_host_device_scalarIT6_EEPKT1_PKS2_PKT3_S2_PKT4_llS5_PT5_ll16rocsparse_order_21rocsparse_index_base_b
; %bb.0:
	s_load_dwordx4 s[20:23], s[4:5], 0x88
	s_load_dwordx2 s[10:11], s[4:5], 0x28
	s_load_dwordx2 s[2:3], s[4:5], 0x68
	s_mov_b32 s0, s7
	s_waitcnt lgkmcnt(0)
	s_bitcmp1_b32 s22, 0
	s_cselect_b64 s[12:13], -1, 0
	s_xor_b64 s[8:9], s[12:13], -1
	s_and_b64 vcc, exec, s[12:13]
	v_pk_mov_b32 v[2:3], s[10:11], s[10:11] op_sel:[0,1]
	s_cbranch_vccnz .LBB5_2
; %bb.1:
	v_pk_mov_b32 v[2:3], s[10:11], s[10:11] op_sel:[0,1]
	flat_load_dwordx2 v[2:3], v[2:3]
.LBB5_2:
	s_andn2_b64 vcc, exec, s[8:9]
	v_pk_mov_b32 v[4:5], s[2:3], s[2:3] op_sel:[0,1]
	s_cbranch_vccnz .LBB5_4
; %bb.3:
	v_pk_mov_b32 v[4:5], s[2:3], s[2:3] op_sel:[0,1]
	flat_load_dwordx2 v[4:5], v[4:5]
.LBB5_4:
	s_waitcnt vmcnt(0) lgkmcnt(0)
	v_cmp_neq_f64_e32 vcc, 0, v[2:3]
	v_cmp_neq_f64_e64 s[2:3], 1.0, v[4:5]
	s_mov_b64 s[22:23], 0
	s_or_b64 s[2:3], vcc, s[2:3]
	s_and_saveexec_b64 s[8:9], s[2:3]
	s_cbranch_execz .LBB5_52
; %bb.5:
	s_load_dwordx4 s[24:27], s[4:5], 0x8
	s_load_dwordx2 s[8:9], s[4:5], 0x30
	s_ashr_i32 s7, s6, 31
	s_waitcnt lgkmcnt(0)
	v_pk_mov_b32 v[6:7], s[24:25], s[24:25] op_sel:[0,1]
	v_cmp_ge_i64_e32 vcc, s[6:7], v[6:7]
	v_cmp_lt_i64_e64 s[2:3], s[6:7], v[6:7]
	s_cbranch_vccz .LBB5_8
; %bb.6:
	s_andn2_b64 vcc, exec, s[2:3]
	s_mov_b64 s[24:25], 0
	s_cbranch_vccz .LBB5_9
.LBB5_7:
	s_load_dwordx2 s[28:29], s[4:5], 0x48
	s_waitcnt lgkmcnt(0)
	v_cmp_lt_i64_e64 s[8:9], s[28:29], 1
	s_and_b64 vcc, exec, s[8:9]
	s_cbranch_vccz .LBB5_10
	s_branch .LBB5_52
.LBB5_8:
	s_lshl_b64 s[10:11], s[6:7], 3
	s_add_u32 s10, s8, s10
	s_addc_u32 s11, s9, s11
	s_load_dwordx2 s[10:11], s[10:11], 0x0
	s_waitcnt lgkmcnt(0)
	s_sub_u32 s22, s10, s21
	s_subb_u32 s23, s11, 0
	s_andn2_b64 vcc, exec, s[2:3]
	s_mov_b64 s[24:25], 0
	s_cbranch_vccnz .LBB5_7
.LBB5_9:
	s_lshl_b64 s[10:11], s[6:7], 3
	s_add_u32 s8, s8, s10
	s_addc_u32 s9, s9, s11
	s_load_dwordx2 s[8:9], s[8:9], 0x8
	s_waitcnt lgkmcnt(0)
	s_sub_u32 s24, s8, s21
	s_subb_u32 s25, s9, 0
	s_load_dwordx2 s[28:29], s[4:5], 0x48
	s_waitcnt lgkmcnt(0)
	v_cmp_lt_i64_e64 s[8:9], s[28:29], 1
	s_and_b64 vcc, exec, s[8:9]
	s_cbranch_vccnz .LBB5_52
.LBB5_10:
	s_load_dwordx4 s[8:11], s[4:5], 0x70
	s_load_dwordx4 s[12:15], s[4:5], 0x50
	v_bfe_u32 v6, v0, 10, 10
	v_lshl_add_u32 v10, s0, 5, v6
	v_mov_b32_e32 v11, 0
	v_lshlrev_b64 v[8:9], 3, v[10:11]
	s_waitcnt lgkmcnt(0)
	v_mov_b32_e32 v16, s9
	v_add_co_u32_e32 v1, vcc, s8, v8
	s_load_dwordx4 s[16:19], s[4:5], 0x38
	s_load_dwordx2 s[36:37], s[4:5], 0x0
	v_addc_co_u32_e32 v7, vcc, v16, v9, vcc
	v_and_b32_e32 v0, 0x3ff, v0
	v_mov_b32_e32 v17, s13
	v_add_co_u32_e32 v26, vcc, s12, v8
	v_lshlrev_b32_e32 v8, 5, v6
	v_addc_co_u32_e32 v27, vcc, v17, v9, vcc
	v_add_lshl_u32 v28, v8, v0, 3
	v_mad_u64_u32 v[8:9], s[4:5], v10, s10, 0
	v_mov_b32_e32 v14, v9
	v_mad_u64_u32 v[14:15], s[4:5], v10, s11, v[14:15]
	s_waitcnt lgkmcnt(0)
	s_bitcmp1_b32 s36, 0
	v_mov_b32_e32 v9, v14
	s_cselect_b64 s[0:1], -1, 0
	v_lshlrev_b64 v[8:9], 3, v[8:9]
	s_xor_b64 s[30:31], s[0:1], -1
	s_mul_i32 s0, s6, s29
	s_mul_hi_u32 s1, s6, s28
	v_add_co_u32_e32 v30, vcc, s8, v8
	v_mov_b32_e32 v8, 0x2000
	s_add_i32 s33, s1, s0
	s_mul_i32 s0, s28, s29
	s_mul_hi_u32 s1, s28, s28
	v_addc_co_u32_e32 v31, vcc, v16, v9, vcc
	v_lshl_add_u32 v33, v6, 8, v8
	v_mad_u64_u32 v[8:9], s[4:5], s14, v10, 0
	s_add_i32 s1, s1, s0
	v_mov_b32_e32 v14, v9
	s_add_i32 s35, s1, s0
	v_mad_u64_u32 v[14:15], s[4:5], s15, v10, v[14:15]
	v_cmp_gt_i64_e64 s[0:1], s[26:27], v[10:11]
	s_cmp_lg_u32 s37, 0
	v_mov_b32_e32 v9, v14
	s_cselect_b64 s[26:27], -1, 0
	s_and_b64 s[36:37], s[2:3], s[0:1]
	v_lshlrev_b32_e32 v32, 3, v0
	v_lshlrev_b64 v[8:9], 3, v[8:9]
	s_cmp_lg_u32 s20, 1
	v_add_co_u32_e32 v8, vcc, v8, v32
	s_mul_i32 s4, s22, s29
	s_mul_hi_u32 s5, s22, s28
	s_mov_b32 s55, s21
	s_cselect_b64 s[20:21], -1, 0
	v_addc_co_u32_e32 v9, vcc, 0, v9, vcc
	s_add_i32 s4, s5, s4
	s_mul_i32 s5, s23, s28
	v_add_co_u32_e32 v8, vcc, s12, v8
	s_add_i32 s5, s4, s5
	s_mul_i32 s4, s22, s28
	v_addc_co_u32_e32 v9, vcc, v17, v9, vcc
	s_lshl_b64 s[4:5], s[4:5], 3
	v_mov_b32_e32 v10, s5
	v_add_co_u32_e32 v14, vcc, s4, v32
	v_addc_co_u32_e32 v15, vcc, 0, v10, vcc
	v_lshlrev_b32_e32 v10, 3, v6
	v_mul_lo_u32 v15, s28, v15
	v_mul_lo_u32 v16, s29, v14
	v_mad_u64_u32 v[10:11], s[4:5], s28, v14, v[10:11]
	s_mul_i32 s34, s28, s28
	v_pk_mov_b32 v[12:13], s[24:25], s[24:25] op_sel:[0,1]
	v_add3_u32 v11, v16, v11, v15
	v_mov_b32_e32 v34, s19
	v_add_co_u32_e32 v10, vcc, s18, v10
	s_mul_i32 s54, s6, s28
	v_add_u32_e32 v29, 0x2000, v28
	s_mov_b64 s[38:39], 0
	v_cmp_neq_f64_e64 s[2:3], 0, v[4:5]
	s_lshl_b64 s[8:9], s[28:29], 3
	v_addc_co_u32_e32 v11, vcc, v34, v11, vcc
	s_lshl_b64 s[12:13], s[28:29], 8
	s_lshl_b64 s[40:41], s[34:35], 3
	v_cmp_lt_i64_e64 s[4:5], s[22:23], v[12:13]
	s_branch .LBB5_12
.LBB5_11:                               ;   in Loop: Header=BB5_12 Depth=1
	s_or_b64 exec, exec, s[6:7]
	s_add_u32 s38, s38, 32
	v_mov_b32_e32 v12, s13
	v_add_co_u32_e32 v10, vcc, s12, v10
	s_addc_u32 s39, s39, 0
	v_addc_co_u32_e32 v11, vcc, v11, v12, vcc
	v_pk_mov_b32 v[12:13], s[28:29], s[28:29] op_sel:[0,1]
	v_cmp_lt_i64_e32 vcc, s[38:39], v[12:13]
	s_cbranch_vccz .LBB5_52
.LBB5_12:                               ; =>This Loop Header: Depth=1
                                        ;     Child Loop BB5_15 Depth 2
                                        ;       Child Loop BB5_17 Depth 3
	v_mov_b32_e32 v12, s39
	v_add_co_u32_e32 v14, vcc, s38, v0
	v_addc_co_u32_e32 v15, vcc, 0, v12, vcc
	s_andn2_b64 vcc, exec, s[4:5]
	v_pk_mov_b32 v[12:13], 0, 0
	v_cmp_gt_i64_e64 s[6:7], s[28:29], v[14:15]
	s_cbranch_vccnz .LBB5_41
; %bb.13:                               ;   in Loop: Header=BB5_12 Depth=1
	v_lshlrev_b64 v[12:13], 3, v[14:15]
	v_add_co_u32_e32 v35, vcc, s18, v12
	v_addc_co_u32_e32 v36, vcc, v34, v13, vcc
	v_pk_mov_b32 v[12:13], 0, 0
	v_pk_mov_b32 v[16:17], v[10:11], v[10:11] op_sel:[0,1]
	s_mov_b64 s[42:43], s[22:23]
	s_branch .LBB5_15
.LBB5_14:                               ;   in Loop: Header=BB5_15 Depth=2
	s_add_u32 s42, s42, 1
	v_mov_b32_e32 v18, s41
	v_add_co_u32_e32 v16, vcc, s40, v16
	s_addc_u32 s43, s43, 0
	v_addc_co_u32_e32 v17, vcc, v17, v18, vcc
	v_pk_mov_b32 v[18:19], s[24:25], s[24:25] op_sel:[0,1]
	v_cmp_ge_i64_e32 vcc, s[42:43], v[18:19]
	s_cbranch_vccnz .LBB5_41
.LBB5_15:                               ;   Parent Loop BB5_12 Depth=1
                                        ; =>  This Loop Header: Depth=2
                                        ;       Child Loop BB5_17 Depth 3
	s_mul_i32 s19, s34, s43
	s_mul_hi_u32 s44, s34, s42
	s_add_i32 s19, s44, s19
	s_mul_i32 s44, s35, s42
	s_add_i32 s45, s19, s44
	s_lshl_b64 s[46:47], s[42:43], 3
	s_add_u32 s46, s16, s46
	s_addc_u32 s47, s17, s47
	s_load_dwordx2 s[46:47], s[46:47], 0x0
	s_mul_i32 s44, s34, s42
	v_pk_mov_b32 v[20:21], v[16:17], v[16:17] op_sel:[0,1]
	s_waitcnt lgkmcnt(0)
	s_sub_u32 s46, s46, s55
	s_subb_u32 s47, s47, 0
	s_lshl_b64 s[44:45], s[44:45], 3
	v_mov_b32_e32 v18, s45
	v_add_co_u32_e32 v37, vcc, s44, v35
	s_mul_i32 s19, s46, s29
	s_mul_hi_u32 s48, s46, s28
	v_addc_co_u32_e32 v38, vcc, v36, v18, vcc
	s_mul_i32 s44, s9, s46
	s_mul_i32 s45, s8, s47
	v_mov_b32_e32 v18, s46
	s_add_i32 s19, s48, s19
	s_mul_i32 s48, s47, s28
	s_add_i32 s47, s45, s44
	v_mad_u64_u32 v[18:19], s[44:45], s8, v18, v[8:9]
	s_add_i32 s19, s19, s48
	s_mul_i32 s56, s46, s28
	v_add_u32_e32 v19, s47, v19
	s_mov_b64 s[44:45], 0
	s_branch .LBB5_17
.LBB5_16:                               ;   in Loop: Header=BB5_17 Depth=3
	s_or_b64 exec, exec, s[46:47]
	s_waitcnt vmcnt(0)
	ds_write_b64 v28, v[24:25]
	s_waitcnt lgkmcnt(0)
	s_barrier
	ds_read2_b64 v[22:25], v32 offset1:32
	ds_read_b128 v[40:43], v33
	ds_read_b128 v[44:47], v33 offset:16
	ds_read2_b64 v[48:51], v32 offset0:64 offset1:96
	ds_read_b128 v[52:55], v33 offset:32
	ds_read_b128 v[56:59], v33 offset:48
	ds_read2_b64 v[60:63], v32 offset0:128 offset1:160
	s_waitcnt lgkmcnt(5)
	v_fmac_f64_e32 v[12:13], v[22:23], v[40:41]
	v_fmac_f64_e32 v[12:13], v[24:25], v[42:43]
	ds_read2_b64 v[22:25], v32 offset0:192 offset1:224
	s_waitcnt lgkmcnt(4)
	v_fmac_f64_e32 v[12:13], v[48:49], v[44:45]
	v_fmac_f64_e32 v[12:13], v[50:51], v[46:47]
	s_waitcnt lgkmcnt(1)
	v_fmac_f64_e32 v[12:13], v[60:61], v[52:53]
	v_add_u32_e32 v39, 0x800, v32
	v_fmac_f64_e32 v[12:13], v[62:63], v[54:55]
	ds_read2_b64 v[40:43], v39 offset1:32
	ds_read_b128 v[44:47], v33 offset:64
	s_waitcnt lgkmcnt(2)
	v_fmac_f64_e32 v[12:13], v[22:23], v[56:57]
	v_fmac_f64_e32 v[12:13], v[24:25], v[58:59]
	ds_read2_b64 v[22:25], v39 offset0:64 offset1:96
	ds_read_b128 v[48:51], v33 offset:80
	ds_read2_b64 v[52:55], v39 offset0:128 offset1:160
	ds_read_b128 v[56:59], v33 offset:96
	s_waitcnt lgkmcnt(4)
	v_fmac_f64_e32 v[12:13], v[40:41], v[44:45]
	v_fmac_f64_e32 v[12:13], v[42:43], v[46:47]
	ds_read2_b64 v[40:43], v39 offset0:192 offset1:224
	s_waitcnt lgkmcnt(3)
	v_fmac_f64_e32 v[12:13], v[22:23], v[48:49]
	v_fmac_f64_e32 v[12:13], v[24:25], v[50:51]
	ds_read_b128 v[22:25], v33 offset:112
	s_waitcnt lgkmcnt(2)
	v_fmac_f64_e32 v[12:13], v[52:53], v[56:57]
	v_add_u32_e32 v39, 0x1000, v32
	v_fmac_f64_e32 v[12:13], v[54:55], v[58:59]
	ds_read2_b64 v[44:47], v39 offset1:32
	ds_read_b128 v[48:51], v33 offset:128
	s_waitcnt lgkmcnt(2)
	v_fmac_f64_e32 v[12:13], v[40:41], v[22:23]
	v_fmac_f64_e32 v[12:13], v[42:43], v[24:25]
	ds_read2_b64 v[22:25], v39 offset0:64 offset1:96
	ds_read_b128 v[40:43], v33 offset:144
	ds_read2_b64 v[52:55], v39 offset0:128 offset1:160
	ds_read_b128 v[56:59], v33 offset:160
	s_waitcnt lgkmcnt(4)
	v_fmac_f64_e32 v[12:13], v[44:45], v[48:49]
	v_fmac_f64_e32 v[12:13], v[46:47], v[50:51]
	v_add_co_u32_e32 v18, vcc, 0x100, v18
	s_waitcnt lgkmcnt(2)
	v_fmac_f64_e32 v[12:13], v[22:23], v[40:41]
	v_fmac_f64_e32 v[12:13], v[24:25], v[42:43]
	ds_read_b128 v[22:25], v33 offset:176
	ds_read2_b64 v[40:43], v39 offset0:192 offset1:224
	s_waitcnt lgkmcnt(2)
	v_fmac_f64_e32 v[12:13], v[52:53], v[56:57]
	v_add_u32_e32 v39, 0x1800, v32
	ds_read2_b64 v[44:47], v39 offset1:32
	ds_read_b128 v[48:51], v33 offset:192
	v_fmac_f64_e32 v[12:13], v[54:55], v[58:59]
	s_waitcnt lgkmcnt(2)
	v_fmac_f64_e32 v[12:13], v[40:41], v[22:23]
	v_fmac_f64_e32 v[12:13], v[42:43], v[24:25]
	ds_read_b128 v[22:25], v33 offset:208
	s_waitcnt lgkmcnt(1)
	v_fmac_f64_e32 v[12:13], v[44:45], v[48:49]
	v_fmac_f64_e32 v[12:13], v[46:47], v[50:51]
	ds_read2_b64 v[40:43], v39 offset0:64 offset1:96
	ds_read2_b64 v[44:47], v39 offset0:128 offset1:160
	ds_read_b128 v[48:51], v33 offset:224
	ds_read2_b64 v[52:55], v39 offset0:192 offset1:224
	ds_read_b128 v[56:59], v33 offset:240
	v_addc_co_u32_e32 v19, vcc, 0, v19, vcc
	s_waitcnt lgkmcnt(4)
	v_fmac_f64_e32 v[12:13], v[40:41], v[22:23]
	v_fmac_f64_e32 v[12:13], v[42:43], v[24:25]
	s_waitcnt lgkmcnt(2)
	v_fmac_f64_e32 v[12:13], v[44:45], v[48:49]
	s_add_u32 s44, s44, 32
	v_add_co_u32_e32 v20, vcc, 0x100, v20
	v_fmac_f64_e32 v[12:13], v[46:47], v[50:51]
	s_addc_u32 s45, s45, 0
	v_addc_co_u32_e32 v21, vcc, 0, v21, vcc
	v_pk_mov_b32 v[22:23], s[28:29], s[28:29] op_sel:[0,1]
	s_waitcnt lgkmcnt(0)
	v_fmac_f64_e32 v[12:13], v[52:53], v[56:57]
	v_cmp_ge_i64_e32 vcc, s[44:45], v[22:23]
	v_fmac_f64_e32 v[12:13], v[54:55], v[58:59]
	s_barrier
	s_cbranch_vccnz .LBB5_14
.LBB5_17:                               ;   Parent Loop BB5_12 Depth=1
                                        ;     Parent Loop BB5_15 Depth=2
                                        ; =>    This Inner Loop Header: Depth=3
	s_and_b64 vcc, exec, s[30:31]
	s_cbranch_vccz .LBB5_23
; %bb.18:                               ;   in Loop: Header=BB5_17 Depth=3
	s_mov_b64 s[46:47], 0
	s_mov_b64 s[48:49], 0
                                        ; implicit-def: $vgpr22_vgpr23
	s_and_saveexec_b64 s[50:51], s[0:1]
	s_cbranch_execz .LBB5_22
; %bb.19:                               ;   in Loop: Header=BB5_17 Depth=3
	v_mov_b32_e32 v22, s45
	v_add_co_u32_e32 v24, vcc, s44, v0
	v_addc_co_u32_e32 v25, vcc, 0, v22, vcc
	v_cmp_gt_i64_e32 vcc, s[28:29], v[24:25]
                                        ; implicit-def: $vgpr22_vgpr23
	s_and_saveexec_b64 s[52:53], vcc
	s_xor_b64 s[52:53], exec, s[52:53]
; %bb.20:                               ;   in Loop: Header=BB5_17 Depth=3
	v_mov_b32_e32 v22, s19
	v_add_co_u32_e32 v23, vcc, s56, v24
	v_addc_co_u32_e32 v22, vcc, v25, v22, vcc
	v_mul_lo_u32 v24, v22, s14
	v_mul_lo_u32 v25, v23, s15
	v_mad_u64_u32 v[22:23], s[58:59], v23, s14, 0
	v_add3_u32 v23, v23, v25, v24
	v_lshlrev_b64 v[22:23], 3, v[22:23]
	v_add_co_u32_e32 v22, vcc, v26, v22
	s_mov_b64 s[48:49], exec
	v_addc_co_u32_e32 v23, vcc, v27, v23, vcc
; %bb.21:                               ;   in Loop: Header=BB5_17 Depth=3
	s_or_b64 exec, exec, s[52:53]
	s_and_b64 s[48:49], s[48:49], exec
.LBB5_22:                               ;   in Loop: Header=BB5_17 Depth=3
	s_or_b64 exec, exec, s[50:51]
	s_and_b64 vcc, exec, s[46:47]
	s_cbranch_vccnz .LBB5_24
	s_branch .LBB5_27
.LBB5_23:                               ;   in Loop: Header=BB5_17 Depth=3
	s_mov_b64 s[46:47], -1
	s_mov_b64 s[48:49], 0
                                        ; implicit-def: $vgpr22_vgpr23
	s_cbranch_execz .LBB5_27
.LBB5_24:                               ;   in Loop: Header=BB5_17 Depth=3
	s_and_saveexec_b64 s[46:47], s[0:1]
; %bb.25:                               ;   in Loop: Header=BB5_17 Depth=3
	v_mov_b32_e32 v23, s45
	v_add_co_u32_e32 v22, vcc, s44, v0
	v_addc_co_u32_e32 v23, vcc, 0, v23, vcc
	v_cmp_gt_i64_e32 vcc, s[28:29], v[22:23]
	s_andn2_b64 s[48:49], s[48:49], exec
	s_and_b64 s[50:51], vcc, exec
	s_or_b64 s[48:49], s[48:49], s[50:51]
; %bb.26:                               ;   in Loop: Header=BB5_17 Depth=3
	s_or_b64 exec, exec, s[46:47]
	s_mov_b64 s[46:47], 0
	v_pk_mov_b32 v[22:23], v[18:19], v[18:19] op_sel:[0,1]
.LBB5_27:                               ;   in Loop: Header=BB5_17 Depth=3
	v_pk_mov_b32 v[24:25], s[46:47], s[46:47] op_sel:[0,1]
	s_and_saveexec_b64 s[46:47], s[48:49]
	s_cbranch_execnz .LBB5_35
; %bb.28:                               ;   in Loop: Header=BB5_17 Depth=3
	s_or_b64 exec, exec, s[46:47]
	s_and_b64 vcc, exec, s[26:27]
	ds_write_b64 v29, v[24:25]
	s_cbranch_vccz .LBB5_36
.LBB5_29:                               ;   in Loop: Header=BB5_17 Depth=3
	s_mov_b64 s[46:47], 0
	s_mov_b64 s[48:49], 0
                                        ; implicit-def: $vgpr22_vgpr23
	s_and_saveexec_b64 s[50:51], s[6:7]
	s_cbranch_execz .LBB5_33
; %bb.30:                               ;   in Loop: Header=BB5_17 Depth=3
	v_mov_b32_e32 v22, s45
	v_add_co_u32_e32 v24, vcc, s44, v6
	v_addc_co_u32_e32 v25, vcc, 0, v22, vcc
	v_cmp_gt_i64_e32 vcc, s[28:29], v[24:25]
                                        ; implicit-def: $vgpr22_vgpr23
	s_and_saveexec_b64 s[52:53], vcc
	s_xor_b64 s[52:53], exec, s[52:53]
; %bb.31:                               ;   in Loop: Header=BB5_17 Depth=3
	v_mul_lo_u32 v25, v25, s28
	v_mul_lo_u32 v39, v24, s29
	v_mad_u64_u32 v[22:23], s[58:59], v24, s28, 0
	v_add3_u32 v23, v23, v39, v25
	v_lshlrev_b64 v[22:23], 3, v[22:23]
	v_add_co_u32_e32 v22, vcc, v37, v22
	s_mov_b64 s[48:49], exec
	v_addc_co_u32_e32 v23, vcc, v38, v23, vcc
; %bb.32:                               ;   in Loop: Header=BB5_17 Depth=3
	s_or_b64 exec, exec, s[52:53]
	s_and_b64 s[48:49], s[48:49], exec
.LBB5_33:                               ;   in Loop: Header=BB5_17 Depth=3
	s_or_b64 exec, exec, s[50:51]
	s_and_b64 vcc, exec, s[46:47]
	s_cbranch_vccnz .LBB5_37
.LBB5_34:                               ;   in Loop: Header=BB5_17 Depth=3
	v_pk_mov_b32 v[24:25], s[46:47], s[46:47] op_sel:[0,1]
	s_and_saveexec_b64 s[46:47], s[48:49]
	s_cbranch_execz .LBB5_16
	s_branch .LBB5_40
.LBB5_35:                               ;   in Loop: Header=BB5_17 Depth=3
	global_load_dwordx2 v[24:25], v[22:23], off
	s_or_b64 exec, exec, s[46:47]
	s_and_b64 vcc, exec, s[26:27]
	s_waitcnt vmcnt(0)
	ds_write_b64 v29, v[24:25]
	s_cbranch_vccnz .LBB5_29
.LBB5_36:                               ;   in Loop: Header=BB5_17 Depth=3
	s_mov_b64 s[46:47], -1
	s_mov_b64 s[48:49], 0
                                        ; implicit-def: $vgpr22_vgpr23
	s_cbranch_execz .LBB5_34
.LBB5_37:                               ;   in Loop: Header=BB5_17 Depth=3
	s_and_saveexec_b64 s[46:47], s[6:7]
; %bb.38:                               ;   in Loop: Header=BB5_17 Depth=3
	v_mov_b32_e32 v23, s45
	v_add_co_u32_e32 v22, vcc, s44, v6
	v_addc_co_u32_e32 v23, vcc, 0, v23, vcc
	v_cmp_gt_i64_e32 vcc, s[28:29], v[22:23]
	s_andn2_b64 s[48:49], s[48:49], exec
	s_and_b64 s[50:51], vcc, exec
	s_or_b64 s[48:49], s[48:49], s[50:51]
; %bb.39:                               ;   in Loop: Header=BB5_17 Depth=3
	s_or_b64 exec, exec, s[46:47]
	s_mov_b64 s[46:47], 0
	v_pk_mov_b32 v[22:23], v[20:21], v[20:21] op_sel:[0,1]
	v_pk_mov_b32 v[24:25], s[46:47], s[46:47] op_sel:[0,1]
	s_and_saveexec_b64 s[46:47], s[48:49]
	s_cbranch_execz .LBB5_16
.LBB5_40:                               ;   in Loop: Header=BB5_17 Depth=3
	global_load_dwordx2 v[24:25], v[22:23], off
	s_branch .LBB5_16
.LBB5_41:                               ;   in Loop: Header=BB5_12 Depth=1
	v_cmp_gt_i64_e32 vcc, s[28:29], v[14:15]
	s_and_b64 s[42:43], s[36:37], vcc
	s_and_saveexec_b64 s[6:7], s[42:43]
	s_cbranch_execz .LBB5_11
; %bb.42:                               ;   in Loop: Header=BB5_12 Depth=1
	v_mov_b32_e32 v16, s33
	v_add_co_u32_e32 v14, vcc, s54, v14
	v_addc_co_u32_e32 v15, vcc, v15, v16, vcc
	s_and_saveexec_b64 s[42:43], s[2:3]
	s_xor_b64 s[42:43], exec, s[42:43]
	s_cbranch_execz .LBB5_47
; %bb.43:                               ;   in Loop: Header=BB5_12 Depth=1
	s_mov_b64 s[44:45], -1
	s_and_b64 vcc, exec, s[20:21]
	s_cbranch_vccz .LBB5_45
; %bb.44:                               ;   in Loop: Header=BB5_12 Depth=1
	v_mul_lo_u32 v18, v15, s10
	v_mul_lo_u32 v19, v14, s11
	v_mad_u64_u32 v[16:17], s[44:45], v14, s10, 0
	v_add3_u32 v17, v17, v19, v18
	v_lshlrev_b64 v[16:17], 3, v[16:17]
	v_add_co_u32_e32 v16, vcc, v1, v16
	v_addc_co_u32_e32 v17, vcc, v7, v17, vcc
	global_load_dwordx2 v[18:19], v[16:17], off
	v_mul_f64 v[20:21], v[2:3], v[12:13]
	s_mov_b64 s[44:45], 0
	s_waitcnt vmcnt(0)
	v_fmac_f64_e32 v[20:21], v[4:5], v[18:19]
	global_store_dwordx2 v[16:17], v[20:21], off
.LBB5_45:                               ;   in Loop: Header=BB5_12 Depth=1
	s_andn2_b64 vcc, exec, s[44:45]
	s_cbranch_vccnz .LBB5_47
; %bb.46:                               ;   in Loop: Header=BB5_12 Depth=1
	v_lshlrev_b64 v[14:15], 3, v[14:15]
	v_add_co_u32_e32 v14, vcc, v30, v14
	v_addc_co_u32_e32 v15, vcc, v31, v15, vcc
	global_load_dwordx2 v[16:17], v[14:15], off
	v_mul_f64 v[12:13], v[2:3], v[12:13]
	s_waitcnt vmcnt(0)
	v_fmac_f64_e32 v[12:13], v[4:5], v[16:17]
	global_store_dwordx2 v[14:15], v[12:13], off
                                        ; implicit-def: $vgpr14_vgpr15
                                        ; implicit-def: $vgpr12_vgpr13
.LBB5_47:                               ;   in Loop: Header=BB5_12 Depth=1
	s_andn2_saveexec_b64 s[42:43], s[42:43]
	s_cbranch_execz .LBB5_11
; %bb.48:                               ;   in Loop: Header=BB5_12 Depth=1
	v_mul_f64 v[12:13], v[2:3], v[12:13]
	s_mov_b64 s[42:43], -1
	s_and_b64 vcc, exec, s[20:21]
	s_cbranch_vccz .LBB5_50
; %bb.49:                               ;   in Loop: Header=BB5_12 Depth=1
	v_mul_lo_u32 v18, v15, s10
	v_mul_lo_u32 v19, v14, s11
	v_mad_u64_u32 v[16:17], s[42:43], v14, s10, 0
	v_add3_u32 v17, v17, v19, v18
	v_lshlrev_b64 v[16:17], 3, v[16:17]
	v_add_co_u32_e32 v16, vcc, v1, v16
	v_addc_co_u32_e32 v17, vcc, v7, v17, vcc
	global_store_dwordx2 v[16:17], v[12:13], off
	s_mov_b64 s[42:43], 0
.LBB5_50:                               ;   in Loop: Header=BB5_12 Depth=1
	s_andn2_b64 vcc, exec, s[42:43]
	s_cbranch_vccnz .LBB5_11
; %bb.51:                               ;   in Loop: Header=BB5_12 Depth=1
	v_lshlrev_b64 v[14:15], 3, v[14:15]
	v_add_co_u32_e32 v14, vcc, v30, v14
	v_addc_co_u32_e32 v15, vcc, v31, v15, vcc
	global_store_dwordx2 v[14:15], v[12:13], off
	s_branch .LBB5_11
.LBB5_52:
	s_endpgm
	.section	.rodata,"a",@progbits
	.p2align	6, 0x0
	.amdhsa_kernel _ZN9rocsparseL29bsrmm_general_blockdim_kernelILj32ELj32EllddddEEvb20rocsparse_direction_T2_S2_llNS_24const_host_device_scalarIT6_EEPKT1_PKS2_PKT3_S2_PKT4_llS5_PT5_ll16rocsparse_order_21rocsparse_index_base_b
		.amdhsa_group_segment_fixed_size 16384
		.amdhsa_private_segment_fixed_size 0
		.amdhsa_kernarg_size 148
		.amdhsa_user_sgpr_count 6
		.amdhsa_user_sgpr_private_segment_buffer 1
		.amdhsa_user_sgpr_dispatch_ptr 0
		.amdhsa_user_sgpr_queue_ptr 0
		.amdhsa_user_sgpr_kernarg_segment_ptr 1
		.amdhsa_user_sgpr_dispatch_id 0
		.amdhsa_user_sgpr_flat_scratch_init 0
		.amdhsa_user_sgpr_kernarg_preload_length 0
		.amdhsa_user_sgpr_kernarg_preload_offset 0
		.amdhsa_user_sgpr_private_segment_size 0
		.amdhsa_uses_dynamic_stack 0
		.amdhsa_system_sgpr_private_segment_wavefront_offset 0
		.amdhsa_system_sgpr_workgroup_id_x 1
		.amdhsa_system_sgpr_workgroup_id_y 1
		.amdhsa_system_sgpr_workgroup_id_z 0
		.amdhsa_system_sgpr_workgroup_info 0
		.amdhsa_system_vgpr_workitem_id 1
		.amdhsa_next_free_vgpr 64
		.amdhsa_next_free_sgpr 60
		.amdhsa_accum_offset 64
		.amdhsa_reserve_vcc 1
		.amdhsa_reserve_flat_scratch 0
		.amdhsa_float_round_mode_32 0
		.amdhsa_float_round_mode_16_64 0
		.amdhsa_float_denorm_mode_32 3
		.amdhsa_float_denorm_mode_16_64 3
		.amdhsa_dx10_clamp 1
		.amdhsa_ieee_mode 1
		.amdhsa_fp16_overflow 0
		.amdhsa_tg_split 0
		.amdhsa_exception_fp_ieee_invalid_op 0
		.amdhsa_exception_fp_denorm_src 0
		.amdhsa_exception_fp_ieee_div_zero 0
		.amdhsa_exception_fp_ieee_overflow 0
		.amdhsa_exception_fp_ieee_underflow 0
		.amdhsa_exception_fp_ieee_inexact 0
		.amdhsa_exception_int_div_zero 0
	.end_amdhsa_kernel
	.section	.text._ZN9rocsparseL29bsrmm_general_blockdim_kernelILj32ELj32EllddddEEvb20rocsparse_direction_T2_S2_llNS_24const_host_device_scalarIT6_EEPKT1_PKS2_PKT3_S2_PKT4_llS5_PT5_ll16rocsparse_order_21rocsparse_index_base_b,"axG",@progbits,_ZN9rocsparseL29bsrmm_general_blockdim_kernelILj32ELj32EllddddEEvb20rocsparse_direction_T2_S2_llNS_24const_host_device_scalarIT6_EEPKT1_PKS2_PKT3_S2_PKT4_llS5_PT5_ll16rocsparse_order_21rocsparse_index_base_b,comdat
.Lfunc_end5:
	.size	_ZN9rocsparseL29bsrmm_general_blockdim_kernelILj32ELj32EllddddEEvb20rocsparse_direction_T2_S2_llNS_24const_host_device_scalarIT6_EEPKT1_PKS2_PKT3_S2_PKT4_llS5_PT5_ll16rocsparse_order_21rocsparse_index_base_b, .Lfunc_end5-_ZN9rocsparseL29bsrmm_general_blockdim_kernelILj32ELj32EllddddEEvb20rocsparse_direction_T2_S2_llNS_24const_host_device_scalarIT6_EEPKT1_PKS2_PKT3_S2_PKT4_llS5_PT5_ll16rocsparse_order_21rocsparse_index_base_b
                                        ; -- End function
	.section	.AMDGPU.csdata,"",@progbits
; Kernel info:
; codeLenInByte = 2420
; NumSgprs: 64
; NumVgprs: 64
; NumAgprs: 0
; TotalNumVgprs: 64
; ScratchSize: 0
; MemoryBound: 0
; FloatMode: 240
; IeeeMode: 1
; LDSByteSize: 16384 bytes/workgroup (compile time only)
; SGPRBlocks: 7
; VGPRBlocks: 7
; NumSGPRsForWavesPerEU: 64
; NumVGPRsForWavesPerEU: 64
; AccumOffset: 64
; Occupancy: 8
; WaveLimiterHint : 1
; COMPUTE_PGM_RSRC2:SCRATCH_EN: 0
; COMPUTE_PGM_RSRC2:USER_SGPR: 6
; COMPUTE_PGM_RSRC2:TRAP_HANDLER: 0
; COMPUTE_PGM_RSRC2:TGID_X_EN: 1
; COMPUTE_PGM_RSRC2:TGID_Y_EN: 1
; COMPUTE_PGM_RSRC2:TGID_Z_EN: 0
; COMPUTE_PGM_RSRC2:TIDIG_COMP_CNT: 1
; COMPUTE_PGM_RSRC3_GFX90A:ACCUM_OFFSET: 15
; COMPUTE_PGM_RSRC3_GFX90A:TG_SPLIT: 0
	.section	.text._ZN9rocsparseL29bsrmm_general_blockdim_kernelILj32ELj32Eii21rocsparse_complex_numIfES2_S2_S2_EEvb20rocsparse_direction_T2_S4_llNS_24const_host_device_scalarIT6_EEPKT1_PKS4_PKT3_S4_PKT4_llS7_PT5_ll16rocsparse_order_21rocsparse_index_base_b,"axG",@progbits,_ZN9rocsparseL29bsrmm_general_blockdim_kernelILj32ELj32Eii21rocsparse_complex_numIfES2_S2_S2_EEvb20rocsparse_direction_T2_S4_llNS_24const_host_device_scalarIT6_EEPKT1_PKS4_PKT3_S4_PKT4_llS7_PT5_ll16rocsparse_order_21rocsparse_index_base_b,comdat
	.globl	_ZN9rocsparseL29bsrmm_general_blockdim_kernelILj32ELj32Eii21rocsparse_complex_numIfES2_S2_S2_EEvb20rocsparse_direction_T2_S4_llNS_24const_host_device_scalarIT6_EEPKT1_PKS4_PKT3_S4_PKT4_llS7_PT5_ll16rocsparse_order_21rocsparse_index_base_b ; -- Begin function _ZN9rocsparseL29bsrmm_general_blockdim_kernelILj32ELj32Eii21rocsparse_complex_numIfES2_S2_S2_EEvb20rocsparse_direction_T2_S4_llNS_24const_host_device_scalarIT6_EEPKT1_PKS4_PKT3_S4_PKT4_llS7_PT5_ll16rocsparse_order_21rocsparse_index_base_b
	.p2align	8
	.type	_ZN9rocsparseL29bsrmm_general_blockdim_kernelILj32ELj32Eii21rocsparse_complex_numIfES2_S2_S2_EEvb20rocsparse_direction_T2_S4_llNS_24const_host_device_scalarIT6_EEPKT1_PKS4_PKT3_S4_PKT4_llS7_PT5_ll16rocsparse_order_21rocsparse_index_base_b,@function
_ZN9rocsparseL29bsrmm_general_blockdim_kernelILj32ELj32Eii21rocsparse_complex_numIfES2_S2_S2_EEvb20rocsparse_direction_T2_S4_llNS_24const_host_device_scalarIT6_EEPKT1_PKS4_PKT3_S4_PKT4_llS7_PT5_ll16rocsparse_order_21rocsparse_index_base_b: ; @_ZN9rocsparseL29bsrmm_general_blockdim_kernelILj32ELj32Eii21rocsparse_complex_numIfES2_S2_S2_EEvb20rocsparse_direction_T2_S4_llNS_24const_host_device_scalarIT6_EEPKT1_PKS4_PKT3_S4_PKT4_llS7_PT5_ll16rocsparse_order_21rocsparse_index_base_b
; %bb.0:
	s_load_dwordx4 s[8:11], s[4:5], 0x80
	s_load_dwordx2 s[12:13], s[4:5], 0x20
	s_mov_b32 s2, s7
	s_waitcnt lgkmcnt(0)
	s_bitcmp1_b32 s10, 0
	s_load_dwordx2 s[10:11], s[4:5], 0x60
	s_cselect_b64 s[0:1], -1, 0
	s_xor_b64 s[14:15], s[0:1], -1
	s_and_b64 vcc, exec, s[0:1]
	v_mov_b32_e32 v2, s12
	s_cbranch_vccnz .LBB6_2
; %bb.1:
	v_pk_mov_b32 v[2:3], s[12:13], s[12:13] op_sel:[0,1]
	flat_load_dword v2, v[2:3]
.LBB6_2:
	v_cndmask_b32_e64 v1, 0, 1, s[14:15]
	v_cmp_ne_u32_e64 s[0:1], 1, v1
	s_andn2_b64 vcc, exec, s[14:15]
	v_mov_b32_e32 v3, s13
	s_cbranch_vccz .LBB6_12
; %bb.3:
	s_and_b64 vcc, exec, s[0:1]
	s_waitcnt lgkmcnt(0)
	v_mov_b32_e32 v4, s10
	s_cbranch_vccz .LBB6_13
.LBB6_4:
	s_and_b64 vcc, exec, s[0:1]
	v_mov_b32_e32 v5, s11
	s_cbranch_vccnz .LBB6_6
.LBB6_5:
	v_pk_mov_b32 v[6:7], s[10:11], s[10:11] op_sel:[0,1]
	flat_load_dword v5, v[6:7] offset:4
.LBB6_6:
	s_waitcnt vmcnt(0)
	v_and_b32_e32 v1, 0x7fffffff, v2
	v_cmp_eq_u32_e32 vcc, 0, v1
	v_cmp_eq_f32_e64 s[0:1], 0, v3
	s_and_b64 s[12:13], vcc, s[0:1]
	s_mov_b64 s[0:1], -1
	s_and_saveexec_b64 s[10:11], s[12:13]
	s_cbranch_execz .LBB6_8
; %bb.7:
	s_waitcnt lgkmcnt(0)
	v_and_b32_e32 v1, 0x7fffffff, v5
	v_cmp_neq_f32_e32 vcc, 1.0, v4
	v_cmp_ne_u32_e64 s[0:1], 0, v1
	s_or_b64 s[0:1], vcc, s[0:1]
	s_orn2_b64 s[0:1], s[0:1], exec
.LBB6_8:
	s_or_b64 exec, exec, s[10:11]
	s_and_saveexec_b64 s[10:11], s[0:1]
	s_cbranch_execz .LBB6_62
; %bb.9:
	s_load_dwordx4 s[24:27], s[4:5], 0x0
	s_load_dwordx2 s[0:1], s[4:5], 0x28
	s_mov_b32 s33, 0
	s_mov_b32 s40, 0
	s_waitcnt lgkmcnt(0)
	s_cmp_lt_i32 s6, s26
	s_cselect_b64 s[28:29], -1, 0
	s_cmp_ge_i32 s6, s26
	s_cbranch_scc0 .LBB6_14
; %bb.10:
	s_andn2_b64 vcc, exec, s[28:29]
	s_cbranch_vccz .LBB6_15
.LBB6_11:
	s_load_dword s41, s[4:5], 0x40
	s_waitcnt lgkmcnt(0)
	s_cmp_lt_i32 s41, 1
	s_cbranch_scc0 .LBB6_16
	s_branch .LBB6_62
.LBB6_12:
	v_pk_mov_b32 v[4:5], s[12:13], s[12:13] op_sel:[0,1]
	flat_load_dword v3, v[4:5] offset:4
	s_and_b64 vcc, exec, s[0:1]
	s_waitcnt lgkmcnt(0)
	v_mov_b32_e32 v4, s10
	s_cbranch_vccnz .LBB6_4
.LBB6_13:
	v_pk_mov_b32 v[4:5], s[10:11], s[10:11] op_sel:[0,1]
	flat_load_dword v4, v[4:5]
	s_and_b64 vcc, exec, s[0:1]
	v_mov_b32_e32 v5, s11
	s_cbranch_vccz .LBB6_5
	s_branch .LBB6_6
.LBB6_14:
	s_ashr_i32 s7, s6, 31
	s_lshl_b64 s[10:11], s[6:7], 2
	s_add_u32 s10, s0, s10
	s_addc_u32 s11, s1, s11
	s_load_dword s3, s[10:11], 0x0
	s_waitcnt lgkmcnt(0)
	s_sub_i32 s40, s3, s9
	s_andn2_b64 vcc, exec, s[28:29]
	s_cbranch_vccnz .LBB6_11
.LBB6_15:
	s_ashr_i32 s7, s6, 31
	s_lshl_b64 s[10:11], s[6:7], 2
	s_add_u32 s0, s0, s10
	s_addc_u32 s1, s1, s11
	s_load_dword s0, s[0:1], 0x4
	s_waitcnt lgkmcnt(0)
	s_sub_i32 s33, s0, s9
	s_load_dword s41, s[4:5], 0x40
	s_waitcnt lgkmcnt(0)
	s_cmp_lt_i32 s41, 1
	s_cbranch_scc1 .LBB6_62
.LBB6_16:
	s_load_dwordx4 s[12:15], s[4:5], 0x68
	s_load_dwordx4 s[16:19], s[4:5], 0x30
	s_load_dwordx4 s[20:23], s[4:5], 0x48
	v_and_b32_e32 v1, 0x3ff, v0
	v_bfe_u32 v0, v0, 10, 10
	v_lshl_add_u32 v10, s2, 5, v0
	v_ashrrev_i32_e32 v11, 31, v10
	v_lshlrev_b32_e32 v8, 5, v0
	v_lshlrev_b64 v[6:7], 3, v[10:11]
	v_add_lshl_u32 v22, v8, v1, 3
	s_waitcnt lgkmcnt(0)
	v_mul_lo_u32 v13, v11, s22
	v_mul_lo_u32 v14, v10, s23
	v_mad_u64_u32 v[8:9], s[2:3], v10, s22, 0
	s_bitcmp1_b32 s24, 0
	v_mov_b32_e32 v12, s21
	v_add_co_u32_e32 v20, vcc, s20, v6
	v_add3_u32 v9, v9, v14, v13
	s_cselect_b64 s[0:1], -1, 0
	v_addc_co_u32_e32 v21, vcc, v12, v7, vcc
	v_lshlrev_b64 v[8:9], 3, v[8:9]
	s_xor_b64 s[10:11], s[0:1], -1
	v_add_co_u32_e32 v24, vcc, s20, v8
	s_cmp_lt_i32 s40, s33
	v_addc_co_u32_e32 v25, vcc, v12, v9, vcc
	v_and_b32_e32 v8, 0x7fffffff, v4
	s_cselect_b64 s[4:5], -1, 0
	s_cmp_lg_u32 s25, 0
	v_cmp_ne_u32_e32 vcc, 0, v8
	v_cmp_neq_f32_e64 s[2:3], 0, v5
	v_cmp_gt_i32_e64 s[0:1], s27, v10
	s_cselect_b64 s[20:21], -1, 0
	s_or_b64 s[26:27], vcc, s[2:3]
	v_mov_b32_e32 v9, s13
	v_add_co_u32_e32 v26, vcc, s12, v6
	v_addc_co_u32_e32 v27, vcc, v9, v7, vcc
	v_mul_lo_u32 v7, v11, s14
	v_mul_lo_u32 v12, v10, s15
	v_mad_u64_u32 v[10:11], s[2:3], v10, s14, 0
	v_add3_u32 v11, v11, v12, v7
	v_lshlrev_b64 v[10:11], 3, v[10:11]
	v_add_co_u32_e32 v28, vcc, s12, v10
	v_mov_b32_e32 v10, 0x2000
	s_mul_i32 s2, s40, s41
	v_lshl_add_u32 v31, v0, 8, v10
	v_add_u32_e32 v10, s2, v1
	s_and_b64 s[24:25], s[28:29], s[0:1]
	v_addc_co_u32_e32 v29, vcc, v9, v11, vcc
	v_mad_u64_u32 v[10:11], s[2:3], s41, v10, v[0:1]
	s_cmp_lg_u32 s8, 1
	v_cndmask_b32_e64 v11, 0, 1, s[4:5]
	s_mul_i32 s42, s6, s41
	v_add_u32_e32 v23, 0x2000, v22
	s_mov_b32 s6, 0
	s_cselect_b64 s[28:29], -1, 0
	v_xor_b32_e32 v6, 0x80000000, v3
	v_xor_b32_e32 v8, 0x80000000, v5
	v_mov_b32_e32 v7, v2
	v_mov_b32_e32 v9, v4
	v_lshlrev_b32_e32 v30, 3, v1
	s_lshl_b32 s8, s41, 5
	s_mul_i32 s43, s41, s41
	v_cmp_ne_u32_e64 s[2:3], 1, v11
	s_mov_b32 s44, 0
	s_branch .LBB6_18
.LBB6_17:                               ;   in Loop: Header=BB6_18 Depth=1
	s_or_b64 exec, exec, s[4:5]
	s_add_i32 s44, s44, 32
	s_cmp_lt_i32 s44, s41
	v_add_u32_e32 v10, s8, v10
	s_cbranch_scc0 .LBB6_62
.LBB6_18:                               ; =>This Loop Header: Depth=1
                                        ;     Child Loop BB6_21 Depth 2
                                        ;       Child Loop BB6_23 Depth 3
	v_add_u32_e32 v12, s44, v1
	v_mov_b32_e32 v15, 0
	s_and_b64 vcc, exec, s[2:3]
	v_cmp_gt_i32_e64 s[4:5], s41, v12
	v_mov_b32_e32 v14, v15
	s_cbranch_vccnz .LBB6_51
; %bb.19:                               ;   in Loop: Header=BB6_18 Depth=1
	s_mov_b32 s7, s6
	v_pk_mov_b32 v[14:15], s[6:7], s[6:7] op_sel:[0,1]
	v_mov_b32_e32 v11, v10
	s_mov_b32 s12, s40
	s_branch .LBB6_21
.LBB6_20:                               ;   in Loop: Header=BB6_21 Depth=2
	s_add_i32 s12, s12, 1
	s_cmp_ge_i32 s12, s33
	v_add_u32_e32 v11, s43, v11
	s_cbranch_scc1 .LBB6_51
.LBB6_21:                               ;   Parent Loop BB6_18 Depth=1
                                        ; =>  This Loop Header: Depth=2
                                        ;       Child Loop BB6_23 Depth 3
	s_ashr_i32 s13, s12, 31
	s_lshl_b64 s[30:31], s[12:13], 2
	s_add_u32 s30, s16, s30
	s_addc_u32 s31, s17, s31
	s_load_dword s13, s[30:31], 0x0
	s_mul_i32 s7, s12, s41
	s_waitcnt lgkmcnt(0)
	s_sub_i32 s13, s13, s9
	s_mul_i32 s13, s13, s41
	v_add_u32_e32 v13, s13, v1
	s_mov_b32 s13, 0
	s_branch .LBB6_23
.LBB6_22:                               ;   in Loop: Header=BB6_23 Depth=3
	s_or_b64 exec, exec, s[34:35]
	s_waitcnt vmcnt(0)
	ds_write_b64 v22, v[18:19]
	s_waitcnt lgkmcnt(0)
	s_barrier
	ds_read2_b64 v[16:19], v30 offset1:32
	ds_read_b128 v[32:35], v31
	ds_read_b128 v[36:39], v31 offset:16
	ds_read_b128 v[40:43], v31 offset:32
	;; [unrolled: 1-line block ×3, first 2 shown]
	ds_read2_b64 v[48:51], v30 offset0:64 offset1:96
	s_waitcnt lgkmcnt(4)
	v_pk_fma_f32 v[14:15], v[16:17], v[32:33], v[14:15] op_sel_hi:[1,0,1]
	v_pk_fma_f32 v[14:15], v[16:17], v[32:33], v[14:15] op_sel:[1,1,0] op_sel_hi:[0,1,1] neg_lo:[1,0,0]
	v_pk_fma_f32 v[14:15], v[18:19], v[34:35], v[14:15] op_sel_hi:[1,0,1]
	v_mov_b32_e32 v16, v35
	v_pk_fma_f32 v[14:15], v[18:19], v[16:17], v[14:15] op_sel:[1,0,0] op_sel_hi:[0,0,1] neg_lo:[1,0,0]
	s_waitcnt lgkmcnt(0)
	v_pk_fma_f32 v[18:19], v[48:49], v[36:37], v[14:15] op_sel_hi:[1,0,1]
	ds_read2_b64 v[14:17], v30 offset0:128 offset1:160
	v_pk_fma_f32 v[18:19], v[48:49], v[36:37], v[18:19] op_sel:[1,1,0] op_sel_hi:[0,1,1] neg_lo:[1,0,0]
	v_pk_fma_f32 v[18:19], v[50:51], v[38:39], v[18:19] op_sel_hi:[1,0,1]
	v_mov_b32_e32 v32, v39
	v_pk_fma_f32 v[18:19], v[50:51], v[32:33], v[18:19] op_sel:[1,0,0] op_sel_hi:[0,0,1] neg_lo:[1,0,0]
	ds_read2_b64 v[32:35], v30 offset0:192 offset1:224
	s_waitcnt lgkmcnt(1)
	v_pk_fma_f32 v[18:19], v[14:15], v[40:41], v[18:19] op_sel_hi:[1,0,1]
	v_pk_fma_f32 v[14:15], v[14:15], v[40:41], v[18:19] op_sel:[1,1,0] op_sel_hi:[0,1,1] neg_lo:[1,0,0]
	v_pk_fma_f32 v[14:15], v[16:17], v[42:43], v[14:15] op_sel_hi:[1,0,1]
	v_mov_b32_e32 v18, v43
	v_pk_fma_f32 v[14:15], v[16:17], v[18:19], v[14:15] op_sel:[1,0,0] op_sel_hi:[0,0,1] neg_lo:[1,0,0]
	s_waitcnt lgkmcnt(0)
	v_pk_fma_f32 v[14:15], v[32:33], v[44:45], v[14:15] op_sel_hi:[1,0,1]
	v_pk_fma_f32 v[18:19], v[32:33], v[44:45], v[14:15] op_sel:[1,1,0] op_sel_hi:[0,1,1] neg_lo:[1,0,0]
	v_add_u32_e32 v44, 0x800, v30
	ds_read2_b64 v[14:17], v44 offset1:32
	ds_read_b128 v[36:39], v31 offset:64
	v_pk_fma_f32 v[18:19], v[34:35], v[46:47], v[18:19] op_sel_hi:[1,0,1]
	v_mov_b32_e32 v32, v47
	v_pk_fma_f32 v[18:19], v[34:35], v[32:33], v[18:19] op_sel:[1,0,0] op_sel_hi:[0,0,1] neg_lo:[1,0,0]
	ds_read_b128 v[32:35], v31 offset:80
	ds_read2_b64 v[40:43], v44 offset0:64 offset1:96
	s_waitcnt lgkmcnt(2)
	v_pk_fma_f32 v[18:19], v[14:15], v[36:37], v[18:19] op_sel_hi:[1,0,1]
	v_pk_fma_f32 v[14:15], v[14:15], v[36:37], v[18:19] op_sel:[1,1,0] op_sel_hi:[0,1,1] neg_lo:[1,0,0]
	v_pk_fma_f32 v[14:15], v[16:17], v[38:39], v[14:15] op_sel_hi:[1,0,1]
	v_mov_b32_e32 v18, v39
	v_pk_fma_f32 v[14:15], v[16:17], v[18:19], v[14:15] op_sel:[1,0,0] op_sel_hi:[0,0,1] neg_lo:[1,0,0]
	s_waitcnt lgkmcnt(0)
	v_pk_fma_f32 v[14:15], v[40:41], v[32:33], v[14:15] op_sel_hi:[1,0,1]
	v_pk_fma_f32 v[18:19], v[40:41], v[32:33], v[14:15] op_sel:[1,1,0] op_sel_hi:[0,1,1] neg_lo:[1,0,0]
	ds_read2_b64 v[14:17], v44 offset0:128 offset1:160
	ds_read_b128 v[36:39], v31 offset:96
	v_pk_fma_f32 v[18:19], v[42:43], v[34:35], v[18:19] op_sel_hi:[1,0,1]
	v_mov_b32_e32 v32, v35
	v_pk_fma_f32 v[18:19], v[42:43], v[32:33], v[18:19] op_sel:[1,0,0] op_sel_hi:[0,0,1] neg_lo:[1,0,0]
	ds_read_b128 v[32:35], v31 offset:112
	ds_read2_b64 v[40:43], v44 offset0:192 offset1:224
	s_waitcnt lgkmcnt(2)
	v_pk_fma_f32 v[18:19], v[14:15], v[36:37], v[18:19] op_sel_hi:[1,0,1]
	v_pk_fma_f32 v[14:15], v[14:15], v[36:37], v[18:19] op_sel:[1,1,0] op_sel_hi:[0,1,1] neg_lo:[1,0,0]
	v_pk_fma_f32 v[14:15], v[16:17], v[38:39], v[14:15] op_sel_hi:[1,0,1]
	v_mov_b32_e32 v18, v39
	v_pk_fma_f32 v[14:15], v[16:17], v[18:19], v[14:15] op_sel:[1,0,0] op_sel_hi:[0,0,1] neg_lo:[1,0,0]
	s_waitcnt lgkmcnt(0)
	v_pk_fma_f32 v[14:15], v[40:41], v[32:33], v[14:15] op_sel_hi:[1,0,1]
	v_add_u32_e32 v44, 0x1000, v30
	v_pk_fma_f32 v[18:19], v[40:41], v[32:33], v[14:15] op_sel:[1,1,0] op_sel_hi:[0,1,1] neg_lo:[1,0,0]
	ds_read2_b64 v[14:17], v44 offset1:32
	ds_read_b128 v[36:39], v31 offset:128
	v_pk_fma_f32 v[18:19], v[42:43], v[34:35], v[18:19] op_sel_hi:[1,0,1]
	v_mov_b32_e32 v32, v35
	v_pk_fma_f32 v[18:19], v[42:43], v[32:33], v[18:19] op_sel:[1,0,0] op_sel_hi:[0,0,1] neg_lo:[1,0,0]
	ds_read_b128 v[32:35], v31 offset:144
	ds_read2_b64 v[40:43], v44 offset0:64 offset1:96
	s_waitcnt lgkmcnt(2)
	v_pk_fma_f32 v[18:19], v[14:15], v[36:37], v[18:19] op_sel_hi:[1,0,1]
	v_pk_fma_f32 v[14:15], v[14:15], v[36:37], v[18:19] op_sel:[1,1,0] op_sel_hi:[0,1,1] neg_lo:[1,0,0]
	v_pk_fma_f32 v[14:15], v[16:17], v[38:39], v[14:15] op_sel_hi:[1,0,1]
	v_mov_b32_e32 v18, v39
	v_pk_fma_f32 v[14:15], v[16:17], v[18:19], v[14:15] op_sel:[1,0,0] op_sel_hi:[0,0,1] neg_lo:[1,0,0]
	s_waitcnt lgkmcnt(0)
	v_pk_fma_f32 v[14:15], v[40:41], v[32:33], v[14:15] op_sel_hi:[1,0,1]
	v_pk_fma_f32 v[18:19], v[40:41], v[32:33], v[14:15] op_sel:[1,1,0] op_sel_hi:[0,1,1] neg_lo:[1,0,0]
	ds_read2_b64 v[14:17], v44 offset0:128 offset1:160
	ds_read_b128 v[36:39], v31 offset:160
	v_pk_fma_f32 v[18:19], v[42:43], v[34:35], v[18:19] op_sel_hi:[1,0,1]
	v_mov_b32_e32 v32, v35
	v_pk_fma_f32 v[18:19], v[42:43], v[32:33], v[18:19] op_sel:[1,0,0] op_sel_hi:[0,0,1] neg_lo:[1,0,0]
	ds_read_b128 v[32:35], v31 offset:176
	ds_read2_b64 v[40:43], v44 offset0:192 offset1:224
	s_waitcnt lgkmcnt(2)
	v_pk_fma_f32 v[18:19], v[14:15], v[36:37], v[18:19] op_sel_hi:[1,0,1]
	v_pk_fma_f32 v[14:15], v[14:15], v[36:37], v[18:19] op_sel:[1,1,0] op_sel_hi:[0,1,1] neg_lo:[1,0,0]
	v_pk_fma_f32 v[14:15], v[16:17], v[38:39], v[14:15] op_sel_hi:[1,0,1]
	v_mov_b32_e32 v18, v39
	v_pk_fma_f32 v[14:15], v[16:17], v[18:19], v[14:15] op_sel:[1,0,0] op_sel_hi:[0,0,1] neg_lo:[1,0,0]
	s_waitcnt lgkmcnt(0)
	v_pk_fma_f32 v[14:15], v[40:41], v[32:33], v[14:15] op_sel_hi:[1,0,1]
	v_add_u32_e32 v44, 0x1800, v30
	v_pk_fma_f32 v[18:19], v[40:41], v[32:33], v[14:15] op_sel:[1,1,0] op_sel_hi:[0,1,1] neg_lo:[1,0,0]
	ds_read2_b64 v[14:17], v44 offset1:32
	ds_read_b128 v[36:39], v31 offset:192
	v_pk_fma_f32 v[18:19], v[42:43], v[34:35], v[18:19] op_sel_hi:[1,0,1]
	v_mov_b32_e32 v32, v35
	v_pk_fma_f32 v[18:19], v[42:43], v[32:33], v[18:19] op_sel:[1,0,0] op_sel_hi:[0,0,1] neg_lo:[1,0,0]
	ds_read_b128 v[32:35], v31 offset:208
	ds_read2_b64 v[40:43], v44 offset0:64 offset1:96
	s_waitcnt lgkmcnt(2)
	v_pk_fma_f32 v[18:19], v[14:15], v[36:37], v[18:19] op_sel_hi:[1,0,1]
	v_pk_fma_f32 v[14:15], v[14:15], v[36:37], v[18:19] op_sel:[1,1,0] op_sel_hi:[0,1,1] neg_lo:[1,0,0]
	v_pk_fma_f32 v[14:15], v[16:17], v[38:39], v[14:15] op_sel_hi:[1,0,1]
	v_mov_b32_e32 v18, v39
	v_pk_fma_f32 v[14:15], v[16:17], v[18:19], v[14:15] op_sel:[1,0,0] op_sel_hi:[0,0,1] neg_lo:[1,0,0]
	s_waitcnt lgkmcnt(0)
	v_pk_fma_f32 v[14:15], v[40:41], v[32:33], v[14:15] op_sel_hi:[1,0,1]
	v_pk_fma_f32 v[18:19], v[40:41], v[32:33], v[14:15] op_sel:[1,1,0] op_sel_hi:[0,1,1] neg_lo:[1,0,0]
	ds_read2_b64 v[14:17], v44 offset0:128 offset1:160
	ds_read_b128 v[36:39], v31 offset:224
	v_pk_fma_f32 v[18:19], v[42:43], v[34:35], v[18:19] op_sel_hi:[1,0,1]
	v_mov_b32_e32 v32, v35
	v_pk_fma_f32 v[18:19], v[42:43], v[32:33], v[18:19] op_sel:[1,0,0] op_sel_hi:[0,0,1] neg_lo:[1,0,0]
	ds_read_b128 v[32:35], v31 offset:240
	ds_read2_b64 v[40:43], v44 offset0:192 offset1:224
	s_waitcnt lgkmcnt(2)
	v_pk_fma_f32 v[18:19], v[14:15], v[36:37], v[18:19] op_sel_hi:[1,0,1]
	v_pk_fma_f32 v[14:15], v[14:15], v[36:37], v[18:19] op_sel:[1,1,0] op_sel_hi:[0,1,1] neg_lo:[1,0,0]
	v_pk_fma_f32 v[14:15], v[16:17], v[38:39], v[14:15] op_sel_hi:[1,0,1]
	v_mov_b32_e32 v18, v39
	v_pk_fma_f32 v[14:15], v[16:17], v[18:19], v[14:15] op_sel:[1,0,0] op_sel_hi:[0,0,1] neg_lo:[1,0,0]
	s_waitcnt lgkmcnt(0)
	v_pk_fma_f32 v[14:15], v[40:41], v[32:33], v[14:15] op_sel_hi:[1,0,1]
	v_pk_fma_f32 v[14:15], v[40:41], v[32:33], v[14:15] op_sel:[1,1,0] op_sel_hi:[0,1,1] neg_lo:[1,0,0]
	v_pk_fma_f32 v[14:15], v[42:43], v[34:35], v[14:15] op_sel_hi:[1,0,1]
	v_mov_b32_e32 v16, v35
	s_add_i32 s13, s13, 32
	v_pk_fma_f32 v[14:15], v[42:43], v[16:17], v[14:15] op_sel:[1,0,0] op_sel_hi:[0,0,1] neg_lo:[1,0,0]
	s_cmp_ge_i32 s13, s41
	s_barrier
	s_cbranch_scc1 .LBB6_20
.LBB6_23:                               ;   Parent Loop BB6_18 Depth=1
                                        ;     Parent Loop BB6_21 Depth=2
                                        ; =>    This Inner Loop Header: Depth=3
	s_and_b64 vcc, exec, s[10:11]
	s_cbranch_vccz .LBB6_29
; %bb.24:                               ;   in Loop: Header=BB6_23 Depth=3
	s_mov_b64 s[34:35], 0
	s_mov_b64 s[30:31], 0
                                        ; implicit-def: $vgpr16_vgpr17
	s_and_saveexec_b64 s[36:37], s[0:1]
	s_cbranch_execz .LBB6_28
; %bb.25:                               ;   in Loop: Header=BB6_23 Depth=3
	v_add_u32_e32 v16, s13, v1
	v_cmp_gt_i32_e32 vcc, s41, v16
                                        ; implicit-def: $vgpr16_vgpr17
	s_and_saveexec_b64 s[38:39], vcc
	s_xor_b64 s[38:39], exec, s[38:39]
; %bb.26:                               ;   in Loop: Header=BB6_23 Depth=3
	v_add_u32_e32 v16, s13, v13
	v_ashrrev_i32_e32 v17, 31, v16
	v_mul_lo_u32 v18, v17, s22
	v_mul_lo_u32 v19, v16, s23
	v_mad_u64_u32 v[16:17], s[46:47], v16, s22, 0
	v_add3_u32 v17, v17, v19, v18
	v_lshlrev_b64 v[16:17], 3, v[16:17]
	v_add_co_u32_e32 v16, vcc, v20, v16
	s_mov_b64 s[30:31], exec
	v_addc_co_u32_e32 v17, vcc, v21, v17, vcc
; %bb.27:                               ;   in Loop: Header=BB6_23 Depth=3
	s_or_b64 exec, exec, s[38:39]
	s_and_b64 s[30:31], s[30:31], exec
.LBB6_28:                               ;   in Loop: Header=BB6_23 Depth=3
	s_or_b64 exec, exec, s[36:37]
	s_mov_b32 s36, 0
	s_and_b64 vcc, exec, s[34:35]
	s_cbranch_vccnz .LBB6_30
	s_branch .LBB6_35
.LBB6_29:                               ;   in Loop: Header=BB6_23 Depth=3
	s_mov_b64 s[30:31], 0
                                        ; implicit-def: $vgpr16_vgpr17
                                        ; implicit-def: $sgpr36
	s_cbranch_execz .LBB6_35
.LBB6_30:                               ;   in Loop: Header=BB6_23 Depth=3
                                        ; implicit-def: $vgpr16_vgpr17
	s_and_saveexec_b64 s[34:35], s[0:1]
	s_cbranch_execz .LBB6_34
; %bb.31:                               ;   in Loop: Header=BB6_23 Depth=3
	v_add_u32_e32 v16, s13, v1
	v_cmp_gt_i32_e32 vcc, s41, v16
	s_mov_b64 s[38:39], s[30:31]
                                        ; implicit-def: $vgpr16_vgpr17
	s_and_saveexec_b64 s[36:37], vcc
; %bb.32:                               ;   in Loop: Header=BB6_23 Depth=3
	v_add_u32_e32 v16, s13, v13
	v_ashrrev_i32_e32 v17, 31, v16
	v_lshlrev_b64 v[16:17], 3, v[16:17]
	v_add_co_u32_e32 v16, vcc, v24, v16
	v_addc_co_u32_e32 v17, vcc, v25, v17, vcc
	s_or_b64 s[38:39], s[30:31], exec
; %bb.33:                               ;   in Loop: Header=BB6_23 Depth=3
	s_or_b64 exec, exec, s[36:37]
	s_andn2_b64 s[30:31], s[30:31], exec
	s_and_b64 s[36:37], s[38:39], exec
	s_or_b64 s[30:31], s[30:31], s[36:37]
.LBB6_34:                               ;   in Loop: Header=BB6_23 Depth=3
	s_or_b64 exec, exec, s[34:35]
	s_mov_b32 s36, 0
.LBB6_35:                               ;   in Loop: Header=BB6_23 Depth=3
	v_mov_b32_e32 v18, s36
	v_mov_b32_e32 v19, s36
	s_and_saveexec_b64 s[34:35], s[30:31]
	s_cbranch_execnz .LBB6_43
; %bb.36:                               ;   in Loop: Header=BB6_23 Depth=3
	s_or_b64 exec, exec, s[34:35]
	s_and_b64 vcc, exec, s[20:21]
	ds_write_b64 v23, v[18:19]
	s_cbranch_vccz .LBB6_44
.LBB6_37:                               ;   in Loop: Header=BB6_23 Depth=3
	s_mov_b64 s[34:35], 0
	s_mov_b64 s[30:31], 0
                                        ; implicit-def: $vgpr16
	s_and_saveexec_b64 s[36:37], s[4:5]
	s_cbranch_execz .LBB6_41
; %bb.38:                               ;   in Loop: Header=BB6_23 Depth=3
	v_add_u32_e32 v17, s13, v0
	v_cmp_gt_i32_e32 vcc, s41, v17
                                        ; implicit-def: $vgpr16
	s_and_saveexec_b64 s[38:39], vcc
	s_xor_b64 s[38:39], exec, s[38:39]
; %bb.39:                               ;   in Loop: Header=BB6_23 Depth=3
	v_add_u32_e32 v16, s7, v17
	s_mov_b64 s[30:31], exec
	v_mad_u64_u32 v[16:17], s[46:47], v16, s41, v[12:13]
; %bb.40:                               ;   in Loop: Header=BB6_23 Depth=3
	s_or_b64 exec, exec, s[38:39]
	s_and_b64 s[30:31], s[30:31], exec
.LBB6_41:                               ;   in Loop: Header=BB6_23 Depth=3
	s_or_b64 exec, exec, s[36:37]
	s_mov_b32 s36, 0
	s_and_b64 vcc, exec, s[34:35]
	s_cbranch_vccnz .LBB6_45
.LBB6_42:                               ;   in Loop: Header=BB6_23 Depth=3
	v_mov_b32_e32 v18, s36
	v_mov_b32_e32 v19, s36
	s_and_saveexec_b64 s[34:35], s[30:31]
	s_cbranch_execz .LBB6_22
	s_branch .LBB6_50
.LBB6_43:                               ;   in Loop: Header=BB6_23 Depth=3
	global_load_dwordx2 v[18:19], v[16:17], off
	s_or_b64 exec, exec, s[34:35]
	s_and_b64 vcc, exec, s[20:21]
	s_waitcnt vmcnt(0)
	ds_write_b64 v23, v[18:19]
	s_cbranch_vccnz .LBB6_37
.LBB6_44:                               ;   in Loop: Header=BB6_23 Depth=3
	s_mov_b64 s[30:31], 0
                                        ; implicit-def: $vgpr16
                                        ; implicit-def: $sgpr36
	s_cbranch_execz .LBB6_42
.LBB6_45:                               ;   in Loop: Header=BB6_23 Depth=3
                                        ; implicit-def: $vgpr16
	s_and_saveexec_b64 s[34:35], s[4:5]
	s_cbranch_execz .LBB6_49
; %bb.46:                               ;   in Loop: Header=BB6_23 Depth=3
	v_add_u32_e32 v16, s13, v0
	v_cmp_gt_i32_e32 vcc, s41, v16
	s_mov_b64 s[36:37], s[30:31]
                                        ; implicit-def: $vgpr16
	s_and_saveexec_b64 s[38:39], vcc
; %bb.47:                               ;   in Loop: Header=BB6_23 Depth=3
	v_add_u32_e32 v16, s13, v11
	s_or_b64 s[36:37], s[30:31], exec
; %bb.48:                               ;   in Loop: Header=BB6_23 Depth=3
	s_or_b64 exec, exec, s[38:39]
	s_andn2_b64 s[30:31], s[30:31], exec
	s_and_b64 s[36:37], s[36:37], exec
	s_or_b64 s[30:31], s[30:31], s[36:37]
.LBB6_49:                               ;   in Loop: Header=BB6_23 Depth=3
	s_or_b64 exec, exec, s[34:35]
	s_mov_b32 s36, 0
	v_mov_b32_e32 v18, s36
	v_mov_b32_e32 v19, s36
	s_and_saveexec_b64 s[34:35], s[30:31]
	s_cbranch_execz .LBB6_22
.LBB6_50:                               ;   in Loop: Header=BB6_23 Depth=3
	v_ashrrev_i32_e32 v17, 31, v16
	v_lshlrev_b64 v[16:17], 3, v[16:17]
	v_mov_b32_e32 v18, s19
	v_add_co_u32_e32 v16, vcc, s18, v16
	v_addc_co_u32_e32 v17, vcc, v18, v17, vcc
	global_load_dwordx2 v[18:19], v[16:17], off
	s_branch .LBB6_22
.LBB6_51:                               ;   in Loop: Header=BB6_18 Depth=1
	v_cmp_gt_i32_e32 vcc, s41, v12
	s_and_b64 s[12:13], s[24:25], vcc
	s_and_saveexec_b64 s[4:5], s[12:13]
	s_cbranch_execz .LBB6_17
; %bb.52:                               ;   in Loop: Header=BB6_18 Depth=1
	v_add_u32_e32 v12, s42, v12
	v_ashrrev_i32_e32 v13, 31, v12
	s_and_saveexec_b64 s[12:13], s[26:27]
	s_xor_b64 s[12:13], exec, s[12:13]
	s_cbranch_execz .LBB6_57
; %bb.53:                               ;   in Loop: Header=BB6_18 Depth=1
	s_mov_b64 s[30:31], -1
	s_and_b64 vcc, exec, s[28:29]
	s_cbranch_vccz .LBB6_55
; %bb.54:                               ;   in Loop: Header=BB6_18 Depth=1
	v_mul_lo_u32 v11, v13, s14
	v_mul_lo_u32 v18, v12, s15
	v_mad_u64_u32 v[16:17], s[30:31], v12, s14, 0
	v_add3_u32 v17, v17, v18, v11
	v_lshlrev_b64 v[16:17], 3, v[16:17]
	v_add_co_u32_e32 v16, vcc, v26, v16
	v_addc_co_u32_e32 v17, vcc, v27, v17, vcc
	global_load_dwordx2 v[18:19], v[16:17], off
	v_pk_mul_f32 v[32:33], v[14:15], v[6:7] op_sel:[1,0]
	v_pk_fma_f32 v[32:33], v[2:3], v[14:15], v[32:33] op_sel_hi:[1,0,1]
	s_mov_b64 s[30:31], 0
	s_waitcnt vmcnt(0)
	v_pk_fma_f32 v[32:33], v[4:5], v[18:19], v[32:33] op_sel_hi:[1,0,1]
	v_pk_fma_f32 v[18:19], v[8:9], v[18:19], v[32:33] op_sel:[0,1,0]
	global_store_dwordx2 v[16:17], v[18:19], off
.LBB6_55:                               ;   in Loop: Header=BB6_18 Depth=1
	s_andn2_b64 vcc, exec, s[30:31]
	s_cbranch_vccnz .LBB6_57
; %bb.56:                               ;   in Loop: Header=BB6_18 Depth=1
	v_lshlrev_b64 v[12:13], 3, v[12:13]
	v_add_co_u32_e32 v12, vcc, v28, v12
	v_addc_co_u32_e32 v13, vcc, v29, v13, vcc
	global_load_dwordx2 v[16:17], v[12:13], off
	v_pk_mul_f32 v[18:19], v[14:15], v[6:7] op_sel:[1,0]
	v_pk_fma_f32 v[14:15], v[2:3], v[14:15], v[18:19] op_sel_hi:[1,0,1]
	s_waitcnt vmcnt(0)
	v_pk_fma_f32 v[14:15], v[4:5], v[16:17], v[14:15] op_sel_hi:[1,0,1]
	v_pk_fma_f32 v[14:15], v[8:9], v[16:17], v[14:15] op_sel:[0,1,0]
	global_store_dwordx2 v[12:13], v[14:15], off
                                        ; implicit-def: $vgpr14_vgpr15
                                        ; implicit-def: $vgpr12
.LBB6_57:                               ;   in Loop: Header=BB6_18 Depth=1
	s_andn2_saveexec_b64 s[12:13], s[12:13]
	s_cbranch_execz .LBB6_17
; %bb.58:                               ;   in Loop: Header=BB6_18 Depth=1
	v_pk_mul_f32 v[16:17], v[14:15], v[6:7] op_sel:[1,0]
	v_pk_fma_f32 v[14:15], v[2:3], v[14:15], v[16:17] op_sel_hi:[1,0,1]
	s_mov_b64 s[12:13], -1
	s_and_b64 vcc, exec, s[28:29]
	s_cbranch_vccz .LBB6_60
; %bb.59:                               ;   in Loop: Header=BB6_18 Depth=1
	v_mul_lo_u32 v11, v13, s14
	v_mul_lo_u32 v18, v12, s15
	v_mad_u64_u32 v[16:17], s[12:13], v12, s14, 0
	v_add3_u32 v17, v17, v18, v11
	v_lshlrev_b64 v[16:17], 3, v[16:17]
	v_add_co_u32_e32 v16, vcc, v26, v16
	v_addc_co_u32_e32 v17, vcc, v27, v17, vcc
	global_store_dwordx2 v[16:17], v[14:15], off
	s_mov_b64 s[12:13], 0
.LBB6_60:                               ;   in Loop: Header=BB6_18 Depth=1
	s_andn2_b64 vcc, exec, s[12:13]
	s_cbranch_vccnz .LBB6_17
; %bb.61:                               ;   in Loop: Header=BB6_18 Depth=1
	v_lshlrev_b64 v[12:13], 3, v[12:13]
	v_add_co_u32_e32 v12, vcc, v28, v12
	v_addc_co_u32_e32 v13, vcc, v29, v13, vcc
	global_store_dwordx2 v[12:13], v[14:15], off
	s_branch .LBB6_17
.LBB6_62:
	s_endpgm
	.section	.rodata,"a",@progbits
	.p2align	6, 0x0
	.amdhsa_kernel _ZN9rocsparseL29bsrmm_general_blockdim_kernelILj32ELj32Eii21rocsparse_complex_numIfES2_S2_S2_EEvb20rocsparse_direction_T2_S4_llNS_24const_host_device_scalarIT6_EEPKT1_PKS4_PKT3_S4_PKT4_llS7_PT5_ll16rocsparse_order_21rocsparse_index_base_b
		.amdhsa_group_segment_fixed_size 16384
		.amdhsa_private_segment_fixed_size 0
		.amdhsa_kernarg_size 140
		.amdhsa_user_sgpr_count 6
		.amdhsa_user_sgpr_private_segment_buffer 1
		.amdhsa_user_sgpr_dispatch_ptr 0
		.amdhsa_user_sgpr_queue_ptr 0
		.amdhsa_user_sgpr_kernarg_segment_ptr 1
		.amdhsa_user_sgpr_dispatch_id 0
		.amdhsa_user_sgpr_flat_scratch_init 0
		.amdhsa_user_sgpr_kernarg_preload_length 0
		.amdhsa_user_sgpr_kernarg_preload_offset 0
		.amdhsa_user_sgpr_private_segment_size 0
		.amdhsa_uses_dynamic_stack 0
		.amdhsa_system_sgpr_private_segment_wavefront_offset 0
		.amdhsa_system_sgpr_workgroup_id_x 1
		.amdhsa_system_sgpr_workgroup_id_y 1
		.amdhsa_system_sgpr_workgroup_id_z 0
		.amdhsa_system_sgpr_workgroup_info 0
		.amdhsa_system_vgpr_workitem_id 1
		.amdhsa_next_free_vgpr 52
		.amdhsa_next_free_sgpr 48
		.amdhsa_accum_offset 52
		.amdhsa_reserve_vcc 1
		.amdhsa_reserve_flat_scratch 0
		.amdhsa_float_round_mode_32 0
		.amdhsa_float_round_mode_16_64 0
		.amdhsa_float_denorm_mode_32 3
		.amdhsa_float_denorm_mode_16_64 3
		.amdhsa_dx10_clamp 1
		.amdhsa_ieee_mode 1
		.amdhsa_fp16_overflow 0
		.amdhsa_tg_split 0
		.amdhsa_exception_fp_ieee_invalid_op 0
		.amdhsa_exception_fp_denorm_src 0
		.amdhsa_exception_fp_ieee_div_zero 0
		.amdhsa_exception_fp_ieee_overflow 0
		.amdhsa_exception_fp_ieee_underflow 0
		.amdhsa_exception_fp_ieee_inexact 0
		.amdhsa_exception_int_div_zero 0
	.end_amdhsa_kernel
	.section	.text._ZN9rocsparseL29bsrmm_general_blockdim_kernelILj32ELj32Eii21rocsparse_complex_numIfES2_S2_S2_EEvb20rocsparse_direction_T2_S4_llNS_24const_host_device_scalarIT6_EEPKT1_PKS4_PKT3_S4_PKT4_llS7_PT5_ll16rocsparse_order_21rocsparse_index_base_b,"axG",@progbits,_ZN9rocsparseL29bsrmm_general_blockdim_kernelILj32ELj32Eii21rocsparse_complex_numIfES2_S2_S2_EEvb20rocsparse_direction_T2_S4_llNS_24const_host_device_scalarIT6_EEPKT1_PKS4_PKT3_S4_PKT4_llS7_PT5_ll16rocsparse_order_21rocsparse_index_base_b,comdat
.Lfunc_end6:
	.size	_ZN9rocsparseL29bsrmm_general_blockdim_kernelILj32ELj32Eii21rocsparse_complex_numIfES2_S2_S2_EEvb20rocsparse_direction_T2_S4_llNS_24const_host_device_scalarIT6_EEPKT1_PKS4_PKT3_S4_PKT4_llS7_PT5_ll16rocsparse_order_21rocsparse_index_base_b, .Lfunc_end6-_ZN9rocsparseL29bsrmm_general_blockdim_kernelILj32ELj32Eii21rocsparse_complex_numIfES2_S2_S2_EEvb20rocsparse_direction_T2_S4_llNS_24const_host_device_scalarIT6_EEPKT1_PKS4_PKT3_S4_PKT4_llS7_PT5_ll16rocsparse_order_21rocsparse_index_base_b
                                        ; -- End function
	.section	.AMDGPU.csdata,"",@progbits
; Kernel info:
; codeLenInByte = 2788
; NumSgprs: 52
; NumVgprs: 52
; NumAgprs: 0
; TotalNumVgprs: 52
; ScratchSize: 0
; MemoryBound: 0
; FloatMode: 240
; IeeeMode: 1
; LDSByteSize: 16384 bytes/workgroup (compile time only)
; SGPRBlocks: 6
; VGPRBlocks: 6
; NumSGPRsForWavesPerEU: 52
; NumVGPRsForWavesPerEU: 52
; AccumOffset: 52
; Occupancy: 8
; WaveLimiterHint : 1
; COMPUTE_PGM_RSRC2:SCRATCH_EN: 0
; COMPUTE_PGM_RSRC2:USER_SGPR: 6
; COMPUTE_PGM_RSRC2:TRAP_HANDLER: 0
; COMPUTE_PGM_RSRC2:TGID_X_EN: 1
; COMPUTE_PGM_RSRC2:TGID_Y_EN: 1
; COMPUTE_PGM_RSRC2:TGID_Z_EN: 0
; COMPUTE_PGM_RSRC2:TIDIG_COMP_CNT: 1
; COMPUTE_PGM_RSRC3_GFX90A:ACCUM_OFFSET: 12
; COMPUTE_PGM_RSRC3_GFX90A:TG_SPLIT: 0
	.section	.text._ZN9rocsparseL29bsrmm_general_blockdim_kernelILj32ELj32Eli21rocsparse_complex_numIfES2_S2_S2_EEvb20rocsparse_direction_T2_S4_llNS_24const_host_device_scalarIT6_EEPKT1_PKS4_PKT3_S4_PKT4_llS7_PT5_ll16rocsparse_order_21rocsparse_index_base_b,"axG",@progbits,_ZN9rocsparseL29bsrmm_general_blockdim_kernelILj32ELj32Eli21rocsparse_complex_numIfES2_S2_S2_EEvb20rocsparse_direction_T2_S4_llNS_24const_host_device_scalarIT6_EEPKT1_PKS4_PKT3_S4_PKT4_llS7_PT5_ll16rocsparse_order_21rocsparse_index_base_b,comdat
	.globl	_ZN9rocsparseL29bsrmm_general_blockdim_kernelILj32ELj32Eli21rocsparse_complex_numIfES2_S2_S2_EEvb20rocsparse_direction_T2_S4_llNS_24const_host_device_scalarIT6_EEPKT1_PKS4_PKT3_S4_PKT4_llS7_PT5_ll16rocsparse_order_21rocsparse_index_base_b ; -- Begin function _ZN9rocsparseL29bsrmm_general_blockdim_kernelILj32ELj32Eli21rocsparse_complex_numIfES2_S2_S2_EEvb20rocsparse_direction_T2_S4_llNS_24const_host_device_scalarIT6_EEPKT1_PKS4_PKT3_S4_PKT4_llS7_PT5_ll16rocsparse_order_21rocsparse_index_base_b
	.p2align	8
	.type	_ZN9rocsparseL29bsrmm_general_blockdim_kernelILj32ELj32Eli21rocsparse_complex_numIfES2_S2_S2_EEvb20rocsparse_direction_T2_S4_llNS_24const_host_device_scalarIT6_EEPKT1_PKS4_PKT3_S4_PKT4_llS7_PT5_ll16rocsparse_order_21rocsparse_index_base_b,@function
_ZN9rocsparseL29bsrmm_general_blockdim_kernelILj32ELj32Eli21rocsparse_complex_numIfES2_S2_S2_EEvb20rocsparse_direction_T2_S4_llNS_24const_host_device_scalarIT6_EEPKT1_PKS4_PKT3_S4_PKT4_llS7_PT5_ll16rocsparse_order_21rocsparse_index_base_b: ; @_ZN9rocsparseL29bsrmm_general_blockdim_kernelILj32ELj32Eli21rocsparse_complex_numIfES2_S2_S2_EEvb20rocsparse_direction_T2_S4_llNS_24const_host_device_scalarIT6_EEPKT1_PKS4_PKT3_S4_PKT4_llS7_PT5_ll16rocsparse_order_21rocsparse_index_base_b
; %bb.0:
	s_load_dwordx4 s[8:11], s[4:5], 0x80
	s_load_dwordx2 s[12:13], s[4:5], 0x20
	s_mov_b32 s2, s7
	s_waitcnt lgkmcnt(0)
	s_bitcmp1_b32 s10, 0
	s_load_dwordx2 s[10:11], s[4:5], 0x60
	s_cselect_b64 s[0:1], -1, 0
	s_xor_b64 s[14:15], s[0:1], -1
	s_and_b64 vcc, exec, s[0:1]
	v_mov_b32_e32 v2, s12
	s_cbranch_vccnz .LBB7_2
; %bb.1:
	v_pk_mov_b32 v[2:3], s[12:13], s[12:13] op_sel:[0,1]
	flat_load_dword v2, v[2:3]
.LBB7_2:
	v_cndmask_b32_e64 v1, 0, 1, s[14:15]
	v_cmp_ne_u32_e64 s[0:1], 1, v1
	s_andn2_b64 vcc, exec, s[14:15]
	v_mov_b32_e32 v3, s13
	s_cbranch_vccz .LBB7_12
; %bb.3:
	s_and_b64 vcc, exec, s[0:1]
	s_waitcnt lgkmcnt(0)
	v_mov_b32_e32 v4, s10
	s_cbranch_vccz .LBB7_13
.LBB7_4:
	s_and_b64 vcc, exec, s[0:1]
	v_mov_b32_e32 v5, s11
	s_cbranch_vccnz .LBB7_6
.LBB7_5:
	v_pk_mov_b32 v[6:7], s[10:11], s[10:11] op_sel:[0,1]
	flat_load_dword v5, v[6:7] offset:4
.LBB7_6:
	s_waitcnt vmcnt(0)
	v_and_b32_e32 v1, 0x7fffffff, v2
	v_cmp_eq_u32_e32 vcc, 0, v1
	v_cmp_eq_f32_e64 s[0:1], 0, v3
	s_and_b64 s[12:13], vcc, s[0:1]
	s_mov_b64 s[0:1], -1
	s_and_saveexec_b64 s[10:11], s[12:13]
	s_cbranch_execz .LBB7_8
; %bb.7:
	s_waitcnt lgkmcnt(0)
	v_and_b32_e32 v1, 0x7fffffff, v5
	v_cmp_neq_f32_e32 vcc, 1.0, v4
	v_cmp_ne_u32_e64 s[0:1], 0, v1
	s_or_b64 s[0:1], vcc, s[0:1]
	s_orn2_b64 s[0:1], s[0:1], exec
.LBB7_8:
	s_or_b64 exec, exec, s[10:11]
	s_and_saveexec_b64 s[10:11], s[0:1]
	s_cbranch_execz .LBB7_58
; %bb.9:
	s_load_dwordx4 s[24:27], s[4:5], 0x0
	s_load_dwordx2 s[0:1], s[4:5], 0x28
	s_mov_b64 s[10:11], 0
	s_mov_b64 s[28:29], 0
	s_waitcnt lgkmcnt(0)
	s_cmp_lt_i32 s6, s26
	s_cselect_b64 s[34:35], -1, 0
	s_cmp_ge_i32 s6, s26
	s_cbranch_scc0 .LBB7_14
; %bb.10:
	s_andn2_b64 vcc, exec, s[34:35]
	s_cbranch_vccz .LBB7_15
.LBB7_11:
	s_load_dword s33, s[4:5], 0x40
	s_waitcnt lgkmcnt(0)
	s_cmp_lt_i32 s33, 1
	s_cbranch_scc0 .LBB7_16
	s_branch .LBB7_58
.LBB7_12:
	v_pk_mov_b32 v[4:5], s[12:13], s[12:13] op_sel:[0,1]
	flat_load_dword v3, v[4:5] offset:4
	s_and_b64 vcc, exec, s[0:1]
	s_waitcnt lgkmcnt(0)
	v_mov_b32_e32 v4, s10
	s_cbranch_vccnz .LBB7_4
.LBB7_13:
	v_pk_mov_b32 v[4:5], s[10:11], s[10:11] op_sel:[0,1]
	flat_load_dword v4, v[4:5]
	s_and_b64 vcc, exec, s[0:1]
	v_mov_b32_e32 v5, s11
	s_cbranch_vccz .LBB7_5
	s_branch .LBB7_6
.LBB7_14:
	s_ashr_i32 s7, s6, 31
	s_lshl_b64 s[12:13], s[6:7], 3
	s_add_u32 s12, s0, s12
	s_addc_u32 s13, s1, s13
	s_load_dwordx2 s[12:13], s[12:13], 0x0
	s_waitcnt lgkmcnt(0)
	s_sub_u32 s28, s12, s9
	s_subb_u32 s29, s13, 0
	s_andn2_b64 vcc, exec, s[34:35]
	s_cbranch_vccnz .LBB7_11
.LBB7_15:
	s_ashr_i32 s7, s6, 31
	s_lshl_b64 s[10:11], s[6:7], 3
	s_add_u32 s0, s0, s10
	s_addc_u32 s1, s1, s11
	s_load_dwordx2 s[0:1], s[0:1], 0x8
	s_waitcnt lgkmcnt(0)
	s_sub_u32 s10, s0, s9
	s_subb_u32 s11, s1, 0
	s_load_dword s33, s[4:5], 0x40
	s_waitcnt lgkmcnt(0)
	s_cmp_lt_i32 s33, 1
	s_cbranch_scc1 .LBB7_58
.LBB7_16:
	s_load_dwordx4 s[12:15], s[4:5], 0x68
	s_load_dwordx4 s[16:19], s[4:5], 0x30
	;; [unrolled: 1-line block ×3, first 2 shown]
	v_bfe_u32 v17, v0, 10, 10
	v_lshl_add_u32 v8, s2, 5, v17
	v_and_b32_e32 v16, 0x3ff, v0
	v_ashrrev_i32_e32 v9, 31, v8
	v_lshlrev_b32_e32 v6, 5, v17
	v_lshlrev_b64 v[0:1], 3, v[8:9]
	v_add_lshl_u32 v20, v6, v16, 3
	s_waitcnt lgkmcnt(0)
	v_mul_lo_u32 v13, v9, s22
	v_mul_lo_u32 v14, v8, s23
	v_mad_u64_u32 v[6:7], s[2:3], v8, s22, 0
	v_mov_b32_e32 v12, s21
	v_add_co_u32_e32 v18, vcc, s20, v0
	v_add3_u32 v7, v7, v14, v13
	s_bitcmp1_b32 s24, 0
	v_addc_co_u32_e32 v19, vcc, v12, v1, vcc
	v_lshlrev_b64 v[6:7], 3, v[6:7]
	s_cselect_b64 s[0:1], -1, 0
	v_add_co_u32_e32 v22, vcc, s20, v6
	s_xor_b64 s[30:31], s[0:1], -1
	v_addc_co_u32_e32 v23, vcc, v12, v7, vcc
	v_and_b32_e32 v6, 0x7fffffff, v4
	s_cmp_lg_u32 s25, 0
	v_cmp_ne_u32_e32 vcc, 0, v6
	v_cmp_neq_f32_e64 s[2:3], 0, v5
	v_cmp_gt_i32_e64 s[0:1], s27, v8
	s_cselect_b64 s[20:21], -1, 0
	s_or_b64 s[26:27], vcc, s[2:3]
	v_mov_b32_e32 v7, s13
	v_add_co_u32_e32 v24, vcc, s12, v0
	v_addc_co_u32_e32 v25, vcc, v7, v1, vcc
	v_mul_lo_u32 v1, v9, s14
	v_mul_lo_u32 v12, v8, s15
	v_mad_u64_u32 v[8:9], s[2:3], v8, s14, 0
	v_add3_u32 v9, v9, v12, v1
	v_lshlrev_b64 v[8:9], 3, v[8:9]
	v_add_co_u32_e32 v26, vcc, s12, v8
	v_pk_mov_b32 v[10:11], s[10:11], s[10:11] op_sel:[0,1]
	v_addc_co_u32_e32 v27, vcc, v7, v9, vcc
	s_and_b64 s[24:25], s[34:35], s[0:1]
	v_mov_b32_e32 v8, 0x2000
	v_cmp_lt_i64_e32 vcc, s[28:29], v[10:11]
	s_cmp_lg_u32 s8, 1
	v_lshl_add_u32 v29, v17, 8, v8
	v_cndmask_b32_e64 v8, 0, 1, vcc
	s_mul_i32 s44, s6, s33
	v_add_u32_e32 v21, 0x2000, v20
	s_mov_b32 s6, 0
	s_mul_i32 s45, s33, s33
	s_cselect_b64 s[34:35], -1, 0
	v_xor_b32_e32 v0, 0x80000000, v3
	v_xor_b32_e32 v6, 0x80000000, v5
	v_mov_b32_e32 v1, v2
	v_mov_b32_e32 v7, v4
	v_lshlrev_b32_e32 v28, 3, v16
	v_cmp_ne_u32_e64 s[2:3], 1, v8
	s_mov_b32 s8, 0
	s_branch .LBB7_18
.LBB7_17:                               ;   in Loop: Header=BB7_18 Depth=1
	s_or_b64 exec, exec, s[4:5]
	s_add_i32 s8, s8, 32
	s_cmp_lt_i32 s8, s33
	s_cbranch_scc0 .LBB7_58
.LBB7_18:                               ; =>This Loop Header: Depth=1
                                        ;     Child Loop BB7_21 Depth 2
                                        ;       Child Loop BB7_23 Depth 3
	v_add_u32_e32 v30, s8, v16
	v_mov_b32_e32 v9, 0
	s_and_b64 vcc, exec, s[2:3]
	v_cmp_gt_i32_e64 s[4:5], s33, v30
	v_mov_b32_e32 v8, v9
	s_cbranch_vccnz .LBB7_47
; %bb.19:                               ;   in Loop: Header=BB7_18 Depth=1
	s_mov_b32 s7, s6
	v_mul_lo_u32 v31, v30, s33
	v_pk_mov_b32 v[8:9], s[6:7], s[6:7] op_sel:[0,1]
	s_mov_b64 s[12:13], s[28:29]
	s_branch .LBB7_21
.LBB7_20:                               ;   in Loop: Header=BB7_21 Depth=2
	s_add_u32 s12, s12, 1
	s_addc_u32 s13, s13, 0
	v_pk_mov_b32 v[10:11], s[10:11], s[10:11] op_sel:[0,1]
	v_cmp_ge_i64_e32 vcc, s[12:13], v[10:11]
	s_cbranch_vccnz .LBB7_47
.LBB7_21:                               ;   Parent Loop BB7_18 Depth=1
                                        ; =>  This Loop Header: Depth=2
                                        ;       Child Loop BB7_23 Depth 3
	s_lshl_b64 s[36:37], s[12:13], 2
	s_add_u32 s36, s16, s36
	s_addc_u32 s37, s17, s37
	s_load_dword s7, s[36:37], 0x0
	s_mul_i32 s37, s13, s45
	s_mul_hi_u32 s38, s12, s45
	s_mul_i32 s36, s12, s45
	s_add_i32 s37, s38, s37
	s_waitcnt lgkmcnt(0)
	s_sub_i32 s7, s7, s9
	s_lshl_b64 s[36:37], s[36:37], 3
	s_mul_i32 s38, s7, s33
	s_add_u32 s7, s18, s36
	s_addc_u32 s46, s19, s37
	v_add_u32_e32 v32, s38, v16
	s_mov_b32 s47, 0
	s_branch .LBB7_23
.LBB7_22:                               ;   in Loop: Header=BB7_23 Depth=3
	s_or_b64 exec, exec, s[38:39]
	s_waitcnt vmcnt(0)
	ds_write_b64 v20, v[14:15]
	s_waitcnt lgkmcnt(0)
	s_barrier
	ds_read2_b64 v[10:13], v28 offset1:32
	ds_read_b128 v[34:37], v29
	ds_read_b128 v[38:41], v29 offset:16
	ds_read_b128 v[42:45], v29 offset:32
	;; [unrolled: 1-line block ×3, first 2 shown]
	ds_read2_b64 v[50:53], v28 offset0:64 offset1:96
	s_waitcnt lgkmcnt(4)
	v_pk_fma_f32 v[8:9], v[10:11], v[34:35], v[8:9] op_sel_hi:[1,0,1]
	v_pk_fma_f32 v[8:9], v[10:11], v[34:35], v[8:9] op_sel:[1,1,0] op_sel_hi:[0,1,1] neg_lo:[1,0,0]
	v_pk_fma_f32 v[8:9], v[12:13], v[36:37], v[8:9] op_sel_hi:[1,0,1]
	v_mov_b32_e32 v10, v37
	v_pk_fma_f32 v[8:9], v[12:13], v[10:11], v[8:9] op_sel:[1,0,0] op_sel_hi:[0,0,1] neg_lo:[1,0,0]
	s_waitcnt lgkmcnt(0)
	v_pk_fma_f32 v[12:13], v[50:51], v[38:39], v[8:9] op_sel_hi:[1,0,1]
	ds_read2_b64 v[8:11], v28 offset0:128 offset1:160
	v_pk_fma_f32 v[12:13], v[50:51], v[38:39], v[12:13] op_sel:[1,1,0] op_sel_hi:[0,1,1] neg_lo:[1,0,0]
	v_pk_fma_f32 v[12:13], v[52:53], v[40:41], v[12:13] op_sel_hi:[1,0,1]
	v_mov_b32_e32 v14, v41
	v_pk_fma_f32 v[12:13], v[52:53], v[14:15], v[12:13] op_sel:[1,0,0] op_sel_hi:[0,0,1] neg_lo:[1,0,0]
	s_waitcnt lgkmcnt(0)
	v_pk_fma_f32 v[34:35], v[8:9], v[42:43], v[12:13] op_sel_hi:[1,0,1]
	ds_read2_b64 v[12:15], v28 offset0:192 offset1:224
	v_pk_fma_f32 v[8:9], v[8:9], v[42:43], v[34:35] op_sel:[1,1,0] op_sel_hi:[0,1,1] neg_lo:[1,0,0]
	v_pk_fma_f32 v[8:9], v[10:11], v[44:45], v[8:9] op_sel_hi:[1,0,1]
	v_mov_b32_e32 v34, v45
	v_pk_fma_f32 v[8:9], v[10:11], v[34:35], v[8:9] op_sel:[1,0,0] op_sel_hi:[0,0,1] neg_lo:[1,0,0]
	s_waitcnt lgkmcnt(0)
	v_pk_fma_f32 v[8:9], v[12:13], v[46:47], v[8:9] op_sel_hi:[1,0,1]
	v_add_u32_e32 v33, 0x800, v28
	v_pk_fma_f32 v[12:13], v[12:13], v[46:47], v[8:9] op_sel:[1,1,0] op_sel_hi:[0,1,1] neg_lo:[1,0,0]
	ds_read2_b64 v[8:11], v33 offset1:32
	ds_read_b128 v[34:37], v29 offset:64
	v_pk_fma_f32 v[12:13], v[14:15], v[48:49], v[12:13] op_sel_hi:[1,0,1]
	v_mov_b32_e32 v38, v49
	v_pk_fma_f32 v[38:39], v[14:15], v[38:39], v[12:13] op_sel:[1,0,0] op_sel_hi:[0,0,1] neg_lo:[1,0,0]
	ds_read_b128 v[12:15], v29 offset:80
	s_waitcnt lgkmcnt(1)
	v_pk_fma_f32 v[42:43], v[8:9], v[34:35], v[38:39] op_sel_hi:[1,0,1]
	ds_read2_b64 v[38:41], v33 offset0:64 offset1:96
	v_pk_fma_f32 v[8:9], v[8:9], v[34:35], v[42:43] op_sel:[1,1,0] op_sel_hi:[0,1,1] neg_lo:[1,0,0]
	v_pk_fma_f32 v[8:9], v[10:11], v[36:37], v[8:9] op_sel_hi:[1,0,1]
	v_mov_b32_e32 v34, v37
	v_pk_fma_f32 v[8:9], v[10:11], v[34:35], v[8:9] op_sel:[1,0,0] op_sel_hi:[0,0,1] neg_lo:[1,0,0]
	s_waitcnt lgkmcnt(0)
	v_pk_fma_f32 v[8:9], v[38:39], v[12:13], v[8:9] op_sel_hi:[1,0,1]
	v_pk_fma_f32 v[12:13], v[38:39], v[12:13], v[8:9] op_sel:[1,1,0] op_sel_hi:[0,1,1] neg_lo:[1,0,0]
	ds_read2_b64 v[8:11], v33 offset0:128 offset1:160
	ds_read_b128 v[34:37], v29 offset:96
	v_pk_fma_f32 v[12:13], v[40:41], v[14:15], v[12:13] op_sel_hi:[1,0,1]
	v_mov_b32_e32 v14, v15
	v_pk_fma_f32 v[38:39], v[40:41], v[14:15], v[12:13] op_sel:[1,0,0] op_sel_hi:[0,0,1] neg_lo:[1,0,0]
	ds_read_b128 v[12:15], v29 offset:112
	s_waitcnt lgkmcnt(1)
	v_pk_fma_f32 v[42:43], v[8:9], v[34:35], v[38:39] op_sel_hi:[1,0,1]
	ds_read2_b64 v[38:41], v33 offset0:192 offset1:224
	v_pk_fma_f32 v[8:9], v[8:9], v[34:35], v[42:43] op_sel:[1,1,0] op_sel_hi:[0,1,1] neg_lo:[1,0,0]
	v_pk_fma_f32 v[8:9], v[10:11], v[36:37], v[8:9] op_sel_hi:[1,0,1]
	v_mov_b32_e32 v34, v37
	v_pk_fma_f32 v[8:9], v[10:11], v[34:35], v[8:9] op_sel:[1,0,0] op_sel_hi:[0,0,1] neg_lo:[1,0,0]
	s_waitcnt lgkmcnt(0)
	v_pk_fma_f32 v[8:9], v[38:39], v[12:13], v[8:9] op_sel_hi:[1,0,1]
	v_add_u32_e32 v33, 0x1000, v28
	v_pk_fma_f32 v[12:13], v[38:39], v[12:13], v[8:9] op_sel:[1,1,0] op_sel_hi:[0,1,1] neg_lo:[1,0,0]
	ds_read2_b64 v[8:11], v33 offset1:32
	ds_read_b128 v[34:37], v29 offset:128
	v_pk_fma_f32 v[12:13], v[40:41], v[14:15], v[12:13] op_sel_hi:[1,0,1]
	v_mov_b32_e32 v14, v15
	v_pk_fma_f32 v[38:39], v[40:41], v[14:15], v[12:13] op_sel:[1,0,0] op_sel_hi:[0,0,1] neg_lo:[1,0,0]
	ds_read_b128 v[12:15], v29 offset:144
	s_waitcnt lgkmcnt(1)
	v_pk_fma_f32 v[42:43], v[8:9], v[34:35], v[38:39] op_sel_hi:[1,0,1]
	ds_read2_b64 v[38:41], v33 offset0:64 offset1:96
	v_pk_fma_f32 v[8:9], v[8:9], v[34:35], v[42:43] op_sel:[1,1,0] op_sel_hi:[0,1,1] neg_lo:[1,0,0]
	v_pk_fma_f32 v[8:9], v[10:11], v[36:37], v[8:9] op_sel_hi:[1,0,1]
	v_mov_b32_e32 v34, v37
	v_pk_fma_f32 v[8:9], v[10:11], v[34:35], v[8:9] op_sel:[1,0,0] op_sel_hi:[0,0,1] neg_lo:[1,0,0]
	s_waitcnt lgkmcnt(0)
	v_pk_fma_f32 v[8:9], v[38:39], v[12:13], v[8:9] op_sel_hi:[1,0,1]
	v_pk_fma_f32 v[12:13], v[38:39], v[12:13], v[8:9] op_sel:[1,1,0] op_sel_hi:[0,1,1] neg_lo:[1,0,0]
	ds_read2_b64 v[8:11], v33 offset0:128 offset1:160
	ds_read_b128 v[34:37], v29 offset:160
	v_pk_fma_f32 v[12:13], v[40:41], v[14:15], v[12:13] op_sel_hi:[1,0,1]
	v_mov_b32_e32 v14, v15
	v_pk_fma_f32 v[38:39], v[40:41], v[14:15], v[12:13] op_sel:[1,0,0] op_sel_hi:[0,0,1] neg_lo:[1,0,0]
	ds_read_b128 v[12:15], v29 offset:176
	;; [unrolled: 33-line block ×3, first 2 shown]
	s_waitcnt lgkmcnt(1)
	v_pk_fma_f32 v[42:43], v[8:9], v[34:35], v[38:39] op_sel_hi:[1,0,1]
	ds_read2_b64 v[38:41], v33 offset0:192 offset1:224
	v_pk_fma_f32 v[8:9], v[8:9], v[34:35], v[42:43] op_sel:[1,1,0] op_sel_hi:[0,1,1] neg_lo:[1,0,0]
	v_pk_fma_f32 v[8:9], v[10:11], v[36:37], v[8:9] op_sel_hi:[1,0,1]
	v_mov_b32_e32 v34, v37
	v_pk_fma_f32 v[8:9], v[10:11], v[34:35], v[8:9] op_sel:[1,0,0] op_sel_hi:[0,0,1] neg_lo:[1,0,0]
	s_waitcnt lgkmcnt(0)
	v_pk_fma_f32 v[8:9], v[38:39], v[12:13], v[8:9] op_sel_hi:[1,0,1]
	v_pk_fma_f32 v[8:9], v[38:39], v[12:13], v[8:9] op_sel:[1,1,0] op_sel_hi:[0,1,1] neg_lo:[1,0,0]
	v_pk_fma_f32 v[8:9], v[40:41], v[14:15], v[8:9] op_sel_hi:[1,0,1]
	v_mov_b32_e32 v10, v15
	s_add_i32 s47, s47, 32
	v_pk_fma_f32 v[8:9], v[40:41], v[10:11], v[8:9] op_sel:[1,0,0] op_sel_hi:[0,0,1] neg_lo:[1,0,0]
	s_cmp_ge_i32 s47, s33
	s_barrier
	s_cbranch_scc1 .LBB7_20
.LBB7_23:                               ;   Parent Loop BB7_18 Depth=1
                                        ;     Parent Loop BB7_21 Depth=2
                                        ; =>    This Inner Loop Header: Depth=3
	s_and_b64 vcc, exec, s[30:31]
	s_cbranch_vccz .LBB7_29
; %bb.24:                               ;   in Loop: Header=BB7_23 Depth=3
	s_mov_b64 s[38:39], 0
	s_mov_b64 s[36:37], 0
                                        ; implicit-def: $vgpr10_vgpr11
	s_and_saveexec_b64 s[40:41], s[0:1]
	s_cbranch_execz .LBB7_28
; %bb.25:                               ;   in Loop: Header=BB7_23 Depth=3
	v_add_u32_e32 v10, s47, v16
	v_cmp_gt_i32_e32 vcc, s33, v10
                                        ; implicit-def: $vgpr10_vgpr11
	s_and_saveexec_b64 s[42:43], vcc
	s_xor_b64 s[42:43], exec, s[42:43]
; %bb.26:                               ;   in Loop: Header=BB7_23 Depth=3
	v_add_u32_e32 v10, s47, v32
	v_ashrrev_i32_e32 v11, 31, v10
	v_mul_lo_u32 v12, v11, s22
	v_mul_lo_u32 v13, v10, s23
	v_mad_u64_u32 v[10:11], s[48:49], v10, s22, 0
	v_add3_u32 v11, v11, v13, v12
	v_lshlrev_b64 v[10:11], 3, v[10:11]
	v_add_co_u32_e32 v10, vcc, v18, v10
	s_mov_b64 s[36:37], exec
	v_addc_co_u32_e32 v11, vcc, v19, v11, vcc
; %bb.27:                               ;   in Loop: Header=BB7_23 Depth=3
	s_or_b64 exec, exec, s[42:43]
	s_and_b64 s[36:37], s[36:37], exec
.LBB7_28:                               ;   in Loop: Header=BB7_23 Depth=3
	s_or_b64 exec, exec, s[40:41]
	s_mov_b32 s40, 0
	s_and_b64 vcc, exec, s[38:39]
	s_cbranch_vccnz .LBB7_30
	s_branch .LBB7_35
.LBB7_29:                               ;   in Loop: Header=BB7_23 Depth=3
	s_mov_b64 s[36:37], 0
                                        ; implicit-def: $vgpr10_vgpr11
                                        ; implicit-def: $sgpr40
	s_cbranch_execz .LBB7_35
.LBB7_30:                               ;   in Loop: Header=BB7_23 Depth=3
                                        ; implicit-def: $vgpr10_vgpr11
	s_and_saveexec_b64 s[38:39], s[0:1]
	s_cbranch_execz .LBB7_34
; %bb.31:                               ;   in Loop: Header=BB7_23 Depth=3
	v_add_u32_e32 v10, s47, v16
	v_cmp_gt_i32_e32 vcc, s33, v10
	s_mov_b64 s[42:43], s[36:37]
                                        ; implicit-def: $vgpr10_vgpr11
	s_and_saveexec_b64 s[40:41], vcc
; %bb.32:                               ;   in Loop: Header=BB7_23 Depth=3
	v_add_u32_e32 v10, s47, v32
	v_ashrrev_i32_e32 v11, 31, v10
	v_lshlrev_b64 v[10:11], 3, v[10:11]
	v_add_co_u32_e32 v10, vcc, v22, v10
	v_addc_co_u32_e32 v11, vcc, v23, v11, vcc
	s_or_b64 s[42:43], s[36:37], exec
; %bb.33:                               ;   in Loop: Header=BB7_23 Depth=3
	s_or_b64 exec, exec, s[40:41]
	s_andn2_b64 s[36:37], s[36:37], exec
	s_and_b64 s[40:41], s[42:43], exec
	s_or_b64 s[36:37], s[36:37], s[40:41]
.LBB7_34:                               ;   in Loop: Header=BB7_23 Depth=3
	s_or_b64 exec, exec, s[38:39]
	s_mov_b32 s40, 0
.LBB7_35:                               ;   in Loop: Header=BB7_23 Depth=3
	v_mov_b32_e32 v12, s40
	v_mov_b32_e32 v13, s40
	s_and_saveexec_b64 s[38:39], s[36:37]
	s_cbranch_execnz .LBB7_45
; %bb.36:                               ;   in Loop: Header=BB7_23 Depth=3
	s_or_b64 exec, exec, s[38:39]
	s_and_b64 vcc, exec, s[20:21]
	ds_write_b64 v21, v[12:13]
	s_cbranch_vccz .LBB7_46
.LBB7_37:                               ;   in Loop: Header=BB7_23 Depth=3
	s_mov_b64 s[38:39], 0
	s_mov_b64 s[36:37], 0
                                        ; implicit-def: $vgpr10
	s_and_saveexec_b64 s[40:41], s[4:5]
	s_cbranch_execz .LBB7_41
; %bb.38:                               ;   in Loop: Header=BB7_23 Depth=3
	v_add_u32_e32 v11, s47, v17
	v_cmp_gt_i32_e32 vcc, s33, v11
                                        ; implicit-def: $vgpr10
	s_and_saveexec_b64 s[42:43], vcc
	s_xor_b64 s[42:43], exec, s[42:43]
; %bb.39:                               ;   in Loop: Header=BB7_23 Depth=3
	s_mov_b64 s[36:37], exec
	v_mul_lo_u32 v10, v11, s33
; %bb.40:                               ;   in Loop: Header=BB7_23 Depth=3
	s_or_b64 exec, exec, s[42:43]
	s_and_b64 s[36:37], s[36:37], exec
.LBB7_41:                               ;   in Loop: Header=BB7_23 Depth=3
	s_or_b64 exec, exec, s[40:41]
	s_mov_b32 s40, 0
	v_mov_b32_e32 v12, v30
	s_and_b64 vcc, exec, s[38:39]
	s_cbranch_vccz .LBB7_43
.LBB7_42:                               ;   in Loop: Header=BB7_23 Depth=3
	v_add_u32_e32 v10, s47, v17
	v_cmp_gt_i32_e32 vcc, s33, v10
	s_and_b64 s[38:39], s[4:5], vcc
	s_andn2_b64 s[36:37], s[36:37], exec
	s_and_b64 s[38:39], s[38:39], exec
	s_mov_b32 s40, 0
	s_or_b64 s[36:37], s[36:37], s[38:39]
	v_mov_b32_e32 v12, v31
.LBB7_43:                               ;   in Loop: Header=BB7_23 Depth=3
	v_mov_b32_e32 v14, s40
	v_mov_b32_e32 v15, s40
	s_and_saveexec_b64 s[38:39], s[36:37]
	s_cbranch_execz .LBB7_22
; %bb.44:                               ;   in Loop: Header=BB7_23 Depth=3
	v_ashrrev_i32_e32 v13, 31, v12
	v_lshlrev_b64 v[12:13], 3, v[12:13]
	v_mov_b32_e32 v11, s46
	v_add_co_u32_e32 v12, vcc, s7, v12
	v_addc_co_u32_e32 v13, vcc, v11, v13, vcc
	v_ashrrev_i32_e32 v11, 31, v10
	v_lshlrev_b64 v[10:11], 3, v[10:11]
	v_add_co_u32_e32 v10, vcc, v12, v10
	v_addc_co_u32_e32 v11, vcc, v13, v11, vcc
	global_load_dwordx2 v[14:15], v[10:11], off
	s_branch .LBB7_22
.LBB7_45:                               ;   in Loop: Header=BB7_23 Depth=3
	global_load_dwordx2 v[12:13], v[10:11], off
	s_or_b64 exec, exec, s[38:39]
	s_and_b64 vcc, exec, s[20:21]
	s_waitcnt vmcnt(0)
	ds_write_b64 v21, v[12:13]
	s_cbranch_vccnz .LBB7_37
.LBB7_46:                               ;   in Loop: Header=BB7_23 Depth=3
	s_mov_b64 s[36:37], 0
                                        ; implicit-def: $vgpr12
                                        ; implicit-def: $vgpr10
                                        ; implicit-def: $sgpr40
	s_cbranch_execnz .LBB7_42
	s_branch .LBB7_43
.LBB7_47:                               ;   in Loop: Header=BB7_18 Depth=1
	v_cmp_gt_i32_e32 vcc, s33, v30
	s_and_b64 s[12:13], s[24:25], vcc
	s_and_saveexec_b64 s[4:5], s[12:13]
	s_cbranch_execz .LBB7_17
; %bb.48:                               ;   in Loop: Header=BB7_18 Depth=1
	v_add_u32_e32 v10, s44, v30
	v_ashrrev_i32_e32 v11, 31, v10
	s_and_saveexec_b64 s[12:13], s[26:27]
	s_xor_b64 s[12:13], exec, s[12:13]
	s_cbranch_execz .LBB7_53
; %bb.49:                               ;   in Loop: Header=BB7_18 Depth=1
	s_mov_b64 s[36:37], -1
	s_and_b64 vcc, exec, s[34:35]
	s_cbranch_vccz .LBB7_51
; %bb.50:                               ;   in Loop: Header=BB7_18 Depth=1
	v_mul_lo_u32 v14, v11, s14
	v_mul_lo_u32 v15, v10, s15
	v_mad_u64_u32 v[12:13], s[36:37], v10, s14, 0
	v_add3_u32 v13, v13, v15, v14
	v_lshlrev_b64 v[12:13], 3, v[12:13]
	v_add_co_u32_e32 v12, vcc, v24, v12
	v_addc_co_u32_e32 v13, vcc, v25, v13, vcc
	global_load_dwordx2 v[14:15], v[12:13], off
	v_pk_mul_f32 v[30:31], v[8:9], v[0:1] op_sel:[1,0]
	v_pk_fma_f32 v[30:31], v[2:3], v[8:9], v[30:31] op_sel_hi:[1,0,1]
	s_mov_b64 s[36:37], 0
	s_waitcnt vmcnt(0)
	v_pk_fma_f32 v[30:31], v[4:5], v[14:15], v[30:31] op_sel_hi:[1,0,1]
	v_pk_fma_f32 v[14:15], v[6:7], v[14:15], v[30:31] op_sel:[0,1,0]
	global_store_dwordx2 v[12:13], v[14:15], off
.LBB7_51:                               ;   in Loop: Header=BB7_18 Depth=1
	s_andn2_b64 vcc, exec, s[36:37]
	s_cbranch_vccnz .LBB7_53
; %bb.52:                               ;   in Loop: Header=BB7_18 Depth=1
	v_lshlrev_b64 v[10:11], 3, v[10:11]
	v_add_co_u32_e32 v10, vcc, v26, v10
	v_addc_co_u32_e32 v11, vcc, v27, v11, vcc
	global_load_dwordx2 v[12:13], v[10:11], off
	v_pk_mul_f32 v[14:15], v[8:9], v[0:1] op_sel:[1,0]
	v_pk_fma_f32 v[8:9], v[2:3], v[8:9], v[14:15] op_sel_hi:[1,0,1]
	s_waitcnt vmcnt(0)
	v_pk_fma_f32 v[8:9], v[4:5], v[12:13], v[8:9] op_sel_hi:[1,0,1]
	v_pk_fma_f32 v[8:9], v[6:7], v[12:13], v[8:9] op_sel:[0,1,0]
	global_store_dwordx2 v[10:11], v[8:9], off
                                        ; implicit-def: $vgpr8_vgpr9
                                        ; implicit-def: $vgpr10
.LBB7_53:                               ;   in Loop: Header=BB7_18 Depth=1
	s_andn2_saveexec_b64 s[12:13], s[12:13]
	s_cbranch_execz .LBB7_17
; %bb.54:                               ;   in Loop: Header=BB7_18 Depth=1
	v_pk_mul_f32 v[12:13], v[8:9], v[0:1] op_sel:[1,0]
	v_pk_fma_f32 v[8:9], v[2:3], v[8:9], v[12:13] op_sel_hi:[1,0,1]
	s_mov_b64 s[12:13], -1
	s_and_b64 vcc, exec, s[34:35]
	s_cbranch_vccz .LBB7_56
; %bb.55:                               ;   in Loop: Header=BB7_18 Depth=1
	v_mul_lo_u32 v14, v11, s14
	v_mul_lo_u32 v15, v10, s15
	v_mad_u64_u32 v[12:13], s[12:13], v10, s14, 0
	v_add3_u32 v13, v13, v15, v14
	v_lshlrev_b64 v[12:13], 3, v[12:13]
	v_add_co_u32_e32 v12, vcc, v24, v12
	v_addc_co_u32_e32 v13, vcc, v25, v13, vcc
	global_store_dwordx2 v[12:13], v[8:9], off
	s_mov_b64 s[12:13], 0
.LBB7_56:                               ;   in Loop: Header=BB7_18 Depth=1
	s_andn2_b64 vcc, exec, s[12:13]
	s_cbranch_vccnz .LBB7_17
; %bb.57:                               ;   in Loop: Header=BB7_18 Depth=1
	v_lshlrev_b64 v[10:11], 3, v[10:11]
	v_add_co_u32_e32 v10, vcc, v26, v10
	v_addc_co_u32_e32 v11, vcc, v27, v11, vcc
	global_store_dwordx2 v[10:11], v[8:9], off
	s_branch .LBB7_17
.LBB7_58:
	s_endpgm
	.section	.rodata,"a",@progbits
	.p2align	6, 0x0
	.amdhsa_kernel _ZN9rocsparseL29bsrmm_general_blockdim_kernelILj32ELj32Eli21rocsparse_complex_numIfES2_S2_S2_EEvb20rocsparse_direction_T2_S4_llNS_24const_host_device_scalarIT6_EEPKT1_PKS4_PKT3_S4_PKT4_llS7_PT5_ll16rocsparse_order_21rocsparse_index_base_b
		.amdhsa_group_segment_fixed_size 16384
		.amdhsa_private_segment_fixed_size 0
		.amdhsa_kernarg_size 140
		.amdhsa_user_sgpr_count 6
		.amdhsa_user_sgpr_private_segment_buffer 1
		.amdhsa_user_sgpr_dispatch_ptr 0
		.amdhsa_user_sgpr_queue_ptr 0
		.amdhsa_user_sgpr_kernarg_segment_ptr 1
		.amdhsa_user_sgpr_dispatch_id 0
		.amdhsa_user_sgpr_flat_scratch_init 0
		.amdhsa_user_sgpr_kernarg_preload_length 0
		.amdhsa_user_sgpr_kernarg_preload_offset 0
		.amdhsa_user_sgpr_private_segment_size 0
		.amdhsa_uses_dynamic_stack 0
		.amdhsa_system_sgpr_private_segment_wavefront_offset 0
		.amdhsa_system_sgpr_workgroup_id_x 1
		.amdhsa_system_sgpr_workgroup_id_y 1
		.amdhsa_system_sgpr_workgroup_id_z 0
		.amdhsa_system_sgpr_workgroup_info 0
		.amdhsa_system_vgpr_workitem_id 1
		.amdhsa_next_free_vgpr 54
		.amdhsa_next_free_sgpr 50
		.amdhsa_accum_offset 56
		.amdhsa_reserve_vcc 1
		.amdhsa_reserve_flat_scratch 0
		.amdhsa_float_round_mode_32 0
		.amdhsa_float_round_mode_16_64 0
		.amdhsa_float_denorm_mode_32 3
		.amdhsa_float_denorm_mode_16_64 3
		.amdhsa_dx10_clamp 1
		.amdhsa_ieee_mode 1
		.amdhsa_fp16_overflow 0
		.amdhsa_tg_split 0
		.amdhsa_exception_fp_ieee_invalid_op 0
		.amdhsa_exception_fp_denorm_src 0
		.amdhsa_exception_fp_ieee_div_zero 0
		.amdhsa_exception_fp_ieee_overflow 0
		.amdhsa_exception_fp_ieee_underflow 0
		.amdhsa_exception_fp_ieee_inexact 0
		.amdhsa_exception_int_div_zero 0
	.end_amdhsa_kernel
	.section	.text._ZN9rocsparseL29bsrmm_general_blockdim_kernelILj32ELj32Eli21rocsparse_complex_numIfES2_S2_S2_EEvb20rocsparse_direction_T2_S4_llNS_24const_host_device_scalarIT6_EEPKT1_PKS4_PKT3_S4_PKT4_llS7_PT5_ll16rocsparse_order_21rocsparse_index_base_b,"axG",@progbits,_ZN9rocsparseL29bsrmm_general_blockdim_kernelILj32ELj32Eli21rocsparse_complex_numIfES2_S2_S2_EEvb20rocsparse_direction_T2_S4_llNS_24const_host_device_scalarIT6_EEPKT1_PKS4_PKT3_S4_PKT4_llS7_PT5_ll16rocsparse_order_21rocsparse_index_base_b,comdat
.Lfunc_end7:
	.size	_ZN9rocsparseL29bsrmm_general_blockdim_kernelILj32ELj32Eli21rocsparse_complex_numIfES2_S2_S2_EEvb20rocsparse_direction_T2_S4_llNS_24const_host_device_scalarIT6_EEPKT1_PKS4_PKT3_S4_PKT4_llS7_PT5_ll16rocsparse_order_21rocsparse_index_base_b, .Lfunc_end7-_ZN9rocsparseL29bsrmm_general_blockdim_kernelILj32ELj32Eli21rocsparse_complex_numIfES2_S2_S2_EEvb20rocsparse_direction_T2_S4_llNS_24const_host_device_scalarIT6_EEPKT1_PKS4_PKT3_S4_PKT4_llS7_PT5_ll16rocsparse_order_21rocsparse_index_base_b
                                        ; -- End function
	.section	.AMDGPU.csdata,"",@progbits
; Kernel info:
; codeLenInByte = 2788
; NumSgprs: 54
; NumVgprs: 54
; NumAgprs: 0
; TotalNumVgprs: 54
; ScratchSize: 0
; MemoryBound: 0
; FloatMode: 240
; IeeeMode: 1
; LDSByteSize: 16384 bytes/workgroup (compile time only)
; SGPRBlocks: 6
; VGPRBlocks: 6
; NumSGPRsForWavesPerEU: 54
; NumVGPRsForWavesPerEU: 54
; AccumOffset: 56
; Occupancy: 8
; WaveLimiterHint : 1
; COMPUTE_PGM_RSRC2:SCRATCH_EN: 0
; COMPUTE_PGM_RSRC2:USER_SGPR: 6
; COMPUTE_PGM_RSRC2:TRAP_HANDLER: 0
; COMPUTE_PGM_RSRC2:TGID_X_EN: 1
; COMPUTE_PGM_RSRC2:TGID_Y_EN: 1
; COMPUTE_PGM_RSRC2:TGID_Z_EN: 0
; COMPUTE_PGM_RSRC2:TIDIG_COMP_CNT: 1
; COMPUTE_PGM_RSRC3_GFX90A:ACCUM_OFFSET: 13
; COMPUTE_PGM_RSRC3_GFX90A:TG_SPLIT: 0
	.section	.text._ZN9rocsparseL29bsrmm_general_blockdim_kernelILj32ELj32Ell21rocsparse_complex_numIfES2_S2_S2_EEvb20rocsparse_direction_T2_S4_llNS_24const_host_device_scalarIT6_EEPKT1_PKS4_PKT3_S4_PKT4_llS7_PT5_ll16rocsparse_order_21rocsparse_index_base_b,"axG",@progbits,_ZN9rocsparseL29bsrmm_general_blockdim_kernelILj32ELj32Ell21rocsparse_complex_numIfES2_S2_S2_EEvb20rocsparse_direction_T2_S4_llNS_24const_host_device_scalarIT6_EEPKT1_PKS4_PKT3_S4_PKT4_llS7_PT5_ll16rocsparse_order_21rocsparse_index_base_b,comdat
	.globl	_ZN9rocsparseL29bsrmm_general_blockdim_kernelILj32ELj32Ell21rocsparse_complex_numIfES2_S2_S2_EEvb20rocsparse_direction_T2_S4_llNS_24const_host_device_scalarIT6_EEPKT1_PKS4_PKT3_S4_PKT4_llS7_PT5_ll16rocsparse_order_21rocsparse_index_base_b ; -- Begin function _ZN9rocsparseL29bsrmm_general_blockdim_kernelILj32ELj32Ell21rocsparse_complex_numIfES2_S2_S2_EEvb20rocsparse_direction_T2_S4_llNS_24const_host_device_scalarIT6_EEPKT1_PKS4_PKT3_S4_PKT4_llS7_PT5_ll16rocsparse_order_21rocsparse_index_base_b
	.p2align	8
	.type	_ZN9rocsparseL29bsrmm_general_blockdim_kernelILj32ELj32Ell21rocsparse_complex_numIfES2_S2_S2_EEvb20rocsparse_direction_T2_S4_llNS_24const_host_device_scalarIT6_EEPKT1_PKS4_PKT3_S4_PKT4_llS7_PT5_ll16rocsparse_order_21rocsparse_index_base_b,@function
_ZN9rocsparseL29bsrmm_general_blockdim_kernelILj32ELj32Ell21rocsparse_complex_numIfES2_S2_S2_EEvb20rocsparse_direction_T2_S4_llNS_24const_host_device_scalarIT6_EEPKT1_PKS4_PKT3_S4_PKT4_llS7_PT5_ll16rocsparse_order_21rocsparse_index_base_b: ; @_ZN9rocsparseL29bsrmm_general_blockdim_kernelILj32ELj32Ell21rocsparse_complex_numIfES2_S2_S2_EEvb20rocsparse_direction_T2_S4_llNS_24const_host_device_scalarIT6_EEPKT1_PKS4_PKT3_S4_PKT4_llS7_PT5_ll16rocsparse_order_21rocsparse_index_base_b
; %bb.0:
	s_load_dwordx4 s[20:23], s[4:5], 0x88
	s_load_dwordx2 s[10:11], s[4:5], 0x28
	s_load_dwordx2 s[2:3], s[4:5], 0x68
	s_mov_b32 s8, s7
	s_waitcnt lgkmcnt(0)
	s_bitcmp1_b32 s22, 0
	s_cselect_b64 s[0:1], -1, 0
	s_xor_b64 s[12:13], s[0:1], -1
	s_and_b64 vcc, exec, s[0:1]
	v_mov_b32_e32 v2, s10
	s_cbranch_vccnz .LBB8_2
; %bb.1:
	v_pk_mov_b32 v[2:3], s[10:11], s[10:11] op_sel:[0,1]
	flat_load_dword v2, v[2:3]
.LBB8_2:
	v_cndmask_b32_e64 v1, 0, 1, s[12:13]
	v_cmp_ne_u32_e64 s[0:1], 1, v1
	s_andn2_b64 vcc, exec, s[12:13]
	v_mov_b32_e32 v3, s11
	s_cbranch_vccz .LBB8_12
; %bb.3:
	s_and_b64 vcc, exec, s[0:1]
	v_mov_b32_e32 v4, s2
	s_cbranch_vccz .LBB8_13
.LBB8_4:
	s_and_b64 vcc, exec, s[0:1]
	v_mov_b32_e32 v5, s3
	s_cbranch_vccnz .LBB8_6
.LBB8_5:
	v_pk_mov_b32 v[6:7], s[2:3], s[2:3] op_sel:[0,1]
	flat_load_dword v5, v[6:7] offset:4
.LBB8_6:
	s_waitcnt vmcnt(0) lgkmcnt(0)
	v_and_b32_e32 v1, 0x7fffffff, v2
	v_cmp_eq_u32_e32 vcc, 0, v1
	v_cmp_eq_f32_e64 s[0:1], 0, v3
	s_and_b64 s[10:11], vcc, s[0:1]
	s_mov_b64 s[0:1], -1
	s_and_saveexec_b64 s[2:3], s[10:11]
; %bb.7:
	v_and_b32_e32 v1, 0x7fffffff, v5
	v_cmp_neq_f32_e32 vcc, 1.0, v4
	v_cmp_ne_u32_e64 s[0:1], 0, v1
	s_or_b64 s[0:1], vcc, s[0:1]
	s_orn2_b64 s[0:1], s[0:1], exec
; %bb.8:
	s_or_b64 exec, exec, s[2:3]
	s_and_saveexec_b64 s[2:3], s[0:1]
	s_cbranch_execz .LBB8_58
; %bb.9:
	s_load_dwordx4 s[24:27], s[4:5], 0x8
	s_load_dwordx2 s[0:1], s[4:5], 0x30
	s_ashr_i32 s7, s6, 31
	s_mov_b64 s[22:23], 0
	s_waitcnt lgkmcnt(0)
	v_pk_mov_b32 v[6:7], s[24:25], s[24:25] op_sel:[0,1]
	v_cmp_ge_i64_e32 vcc, s[6:7], v[6:7]
	v_cmp_lt_i64_e64 s[2:3], s[6:7], v[6:7]
	s_mov_b64 s[24:25], 0
	s_cbranch_vccz .LBB8_14
; %bb.10:
	s_andn2_b64 vcc, exec, s[2:3]
	s_cbranch_vccz .LBB8_15
.LBB8_11:
	s_load_dwordx2 s[28:29], s[4:5], 0x48
	s_waitcnt lgkmcnt(0)
	v_cmp_lt_i64_e64 s[0:1], s[28:29], 1
	s_and_b64 vcc, exec, s[0:1]
	s_cbranch_vccz .LBB8_16
	s_branch .LBB8_58
.LBB8_12:
	v_pk_mov_b32 v[4:5], s[10:11], s[10:11] op_sel:[0,1]
	flat_load_dword v3, v[4:5] offset:4
	s_and_b64 vcc, exec, s[0:1]
	v_mov_b32_e32 v4, s2
	s_cbranch_vccnz .LBB8_4
.LBB8_13:
	v_pk_mov_b32 v[4:5], s[2:3], s[2:3] op_sel:[0,1]
	flat_load_dword v4, v[4:5]
	s_and_b64 vcc, exec, s[0:1]
	v_mov_b32_e32 v5, s3
	s_cbranch_vccz .LBB8_5
	s_branch .LBB8_6
.LBB8_14:
	s_lshl_b64 s[10:11], s[6:7], 3
	s_add_u32 s10, s0, s10
	s_addc_u32 s11, s1, s11
	s_load_dwordx2 s[10:11], s[10:11], 0x0
	s_waitcnt lgkmcnt(0)
	s_sub_u32 s24, s10, s21
	s_subb_u32 s25, s11, 0
	s_andn2_b64 vcc, exec, s[2:3]
	s_cbranch_vccnz .LBB8_11
.LBB8_15:
	s_lshl_b64 s[10:11], s[6:7], 3
	s_add_u32 s0, s0, s10
	s_addc_u32 s1, s1, s11
	s_load_dwordx2 s[0:1], s[0:1], 0x8
	s_waitcnt lgkmcnt(0)
	s_sub_u32 s22, s0, s21
	s_subb_u32 s23, s1, 0
	s_load_dwordx2 s[28:29], s[4:5], 0x48
	s_waitcnt lgkmcnt(0)
	v_cmp_lt_i64_e64 s[0:1], s[28:29], 1
	s_and_b64 vcc, exec, s[0:1]
	s_cbranch_vccnz .LBB8_58
.LBB8_16:
	v_bfe_u32 v6, v0, 10, 10
	s_load_dwordx4 s[12:15], s[4:5], 0x70
	s_load_dwordx4 s[16:19], s[4:5], 0x50
	v_lshl_add_u32 v14, s8, 5, v6
	s_load_dwordx4 s[8:11], s[4:5], 0x38
	s_load_dwordx2 s[36:37], s[4:5], 0x0
	v_mov_b32_e32 v15, 0
	v_lshlrev_b64 v[8:9], 3, v[14:15]
	s_waitcnt lgkmcnt(0)
	v_mov_b32_e32 v11, s13
	v_add_co_u32_e32 v1, vcc, s12, v8
	s_bitcmp1_b32 s36, 0
	s_cselect_b64 s[0:1], -1, 0
	s_xor_b64 s[34:35], s[0:1], -1
	s_mul_i32 s0, s6, s29
	s_mul_hi_u32 s1, s6, s28
	s_add_i32 s33, s1, s0
	s_mul_i32 s0, s28, s29
	s_mul_hi_u32 s1, s28, s28
	v_addc_co_u32_e32 v7, vcc, v11, v9, vcc
	s_add_i32 s1, s1, s0
	v_and_b32_e32 v0, 0x3ff, v0
	s_add_i32 s7, s1, s0
	v_mov_b32_e32 v20, s17
	v_add_co_u32_e32 v30, vcc, s16, v8
	v_lshlrev_b32_e32 v8, 5, v6
	v_addc_co_u32_e32 v31, vcc, v20, v9, vcc
	v_cmp_gt_i64_e64 s[0:1], s[26:27], v[14:15]
	v_add_lshl_u32 v32, v8, v0, 3
	s_cmp_lg_u32 s37, 0
	v_and_b32_e32 v8, 0x7fffffff, v4
	s_cselect_b64 s[26:27], -1, 0
	s_and_b64 s[36:37], s[2:3], s[0:1]
	v_cmp_ne_u32_e32 vcc, 0, v8
	v_cmp_neq_f32_e64 s[2:3], 0, v5
	s_or_b64 s[38:39], vcc, s[2:3]
	v_mad_u64_u32 v[12:13], s[2:3], v14, s14, 0
	v_mov_b32_e32 v18, v13
	v_mad_u64_u32 v[18:19], s[2:3], v14, s15, v[18:19]
	v_mov_b32_e32 v13, v18
	v_lshlrev_b64 v[12:13], 3, v[12:13]
	v_add_co_u32_e32 v34, vcc, s12, v12
	v_mov_b32_e32 v12, 0x2000
	v_addc_co_u32_e32 v35, vcc, v11, v13, vcc
	v_lshl_add_u32 v37, v6, 8, v12
	v_mad_u64_u32 v[12:13], s[2:3], s18, v14, 0
	v_mov_b32_e32 v18, v13
	v_mad_u64_u32 v[18:19], s[2:3], s19, v14, v[18:19]
	v_mov_b32_e32 v13, v18
	v_lshlrev_b32_e32 v36, 3, v0
	v_lshlrev_b64 v[12:13], 3, v[12:13]
	s_cmp_lg_u32 s20, 1
	v_add_co_u32_e32 v12, vcc, v12, v36
	s_mul_i32 s2, s24, s29
	s_mul_hi_u32 s3, s24, s28
	s_mov_b32 s57, s21
	s_cselect_b64 s[20:21], -1, 0
	v_addc_co_u32_e32 v13, vcc, 0, v13, vcc
	s_add_i32 s2, s3, s2
	s_mul_i32 s3, s25, s28
	v_add_co_u32_e32 v12, vcc, s16, v12
	s_add_i32 s3, s2, s3
	s_mul_i32 s2, s24, s28
	v_addc_co_u32_e32 v13, vcc, v20, v13, vcc
	s_lshl_b64 s[2:3], s[2:3], 3
	v_mov_b32_e32 v14, s3
	v_add_co_u32_e32 v18, vcc, s2, v36
	v_addc_co_u32_e32 v19, vcc, 0, v14, vcc
	v_lshlrev_b32_e32 v14, 3, v6
	v_mul_lo_u32 v19, s28, v19
	v_mul_lo_u32 v20, s29, v18
	v_mad_u64_u32 v[14:15], s[2:3], s28, v18, v[14:15]
	s_mul_i32 s56, s6, s28
	s_mul_i32 s6, s28, s28
	v_pk_mov_b32 v[16:17], s[22:23], s[22:23] op_sel:[0,1]
	v_add3_u32 v15, v20, v15, v19
	v_mov_b32_e32 v18, s11
	v_add_co_u32_e32 v14, vcc, s10, v14
	s_mov_b32 s30, 0
	v_add_u32_e32 v33, 0x2000, v32
	v_xor_b32_e32 v8, 0x80000000, v3
	v_xor_b32_e32 v10, 0x80000000, v5
	v_mov_b32_e32 v9, v2
	v_mov_b32_e32 v11, v4
	s_lshl_b64 s[12:13], s[28:29], 3
	v_addc_co_u32_e32 v15, vcc, v18, v15, vcc
	s_lshl_b64 s[16:17], s[28:29], 8
	s_lshl_b64 s[40:41], s[6:7], 3
	s_mov_b64 s[42:43], 0
	v_cmp_lt_i64_e64 s[2:3], s[24:25], v[16:17]
	s_branch .LBB8_18
.LBB8_17:                               ;   in Loop: Header=BB8_18 Depth=1
	s_or_b64 exec, exec, s[4:5]
	s_add_u32 s42, s42, 32
	v_mov_b32_e32 v16, s17
	v_add_co_u32_e32 v14, vcc, s16, v14
	s_addc_u32 s43, s43, 0
	v_addc_co_u32_e32 v15, vcc, v15, v16, vcc
	v_pk_mov_b32 v[16:17], s[28:29], s[28:29] op_sel:[0,1]
	v_cmp_lt_i64_e32 vcc, s[42:43], v[16:17]
	s_cbranch_vccz .LBB8_58
.LBB8_18:                               ; =>This Loop Header: Depth=1
                                        ;     Child Loop BB8_21 Depth 2
                                        ;       Child Loop BB8_23 Depth 3
	v_mov_b32_e32 v17, s43
	v_add_co_u32_e32 v16, vcc, s42, v0
	v_addc_co_u32_e32 v17, vcc, 0, v17, vcc
	s_andn2_b64 vcc, exec, s[2:3]
	v_cmp_gt_i64_e64 s[4:5], s[28:29], v[16:17]
	v_mov_b32_e32 v25, 0
	v_mov_b32_e32 v24, 0
	s_cbranch_vccnz .LBB8_47
; %bb.19:                               ;   in Loop: Header=BB8_18 Depth=1
	v_lshlrev_b64 v[18:19], 3, v[16:17]
	v_mov_b32_e32 v20, s11
	v_add_co_u32_e32 v38, vcc, s10, v18
	s_mov_b32 s31, s30
	v_addc_co_u32_e32 v39, vcc, v20, v19, vcc
	v_pk_mov_b32 v[24:25], s[30:31], s[30:31] op_sel:[0,1]
	v_pk_mov_b32 v[18:19], v[14:15], v[14:15] op_sel:[0,1]
	s_mov_b64 s[44:45], s[24:25]
	s_branch .LBB8_21
.LBB8_20:                               ;   in Loop: Header=BB8_21 Depth=2
	s_add_u32 s44, s44, 1
	v_mov_b32_e32 v20, s41
	v_add_co_u32_e32 v18, vcc, s40, v18
	s_addc_u32 s45, s45, 0
	v_addc_co_u32_e32 v19, vcc, v19, v20, vcc
	v_pk_mov_b32 v[20:21], s[22:23], s[22:23] op_sel:[0,1]
	v_cmp_ge_i64_e32 vcc, s[44:45], v[20:21]
	s_cbranch_vccnz .LBB8_47
.LBB8_21:                               ;   Parent Loop BB8_18 Depth=1
                                        ; =>  This Loop Header: Depth=2
                                        ;       Child Loop BB8_23 Depth 3
	s_mul_i32 s31, s6, s45
	s_mul_hi_u32 s46, s6, s44
	s_add_i32 s31, s46, s31
	s_mul_i32 s46, s7, s44
	s_add_i32 s47, s31, s46
	s_lshl_b64 s[48:49], s[44:45], 3
	s_add_u32 s48, s8, s48
	s_addc_u32 s49, s9, s49
	s_load_dwordx2 s[48:49], s[48:49], 0x0
	s_mul_i32 s46, s6, s44
	v_pk_mov_b32 v[22:23], v[18:19], v[18:19] op_sel:[0,1]
	s_waitcnt lgkmcnt(0)
	s_sub_u32 s48, s48, s57
	s_subb_u32 s49, s49, 0
	s_lshl_b64 s[46:47], s[46:47], 3
	v_mov_b32_e32 v20, s47
	v_add_co_u32_e32 v40, vcc, s46, v38
	s_mul_i32 s31, s48, s29
	s_mul_hi_u32 s50, s48, s28
	v_addc_co_u32_e32 v41, vcc, v39, v20, vcc
	s_mul_i32 s46, s13, s48
	s_mul_i32 s47, s12, s49
	v_mov_b32_e32 v20, s48
	s_add_i32 s31, s50, s31
	s_mul_i32 s50, s49, s28
	s_add_i32 s49, s47, s46
	v_mad_u64_u32 v[20:21], s[46:47], s12, v20, v[12:13]
	s_add_i32 s31, s31, s50
	s_mul_i32 s58, s48, s28
	v_add_u32_e32 v21, s49, v21
	s_mov_b64 s[46:47], 0
	s_branch .LBB8_23
.LBB8_22:                               ;   in Loop: Header=BB8_23 Depth=3
	s_or_b64 exec, exec, s[50:51]
	s_waitcnt vmcnt(0)
	ds_write_b64 v32, v[28:29]
	s_waitcnt lgkmcnt(0)
	s_barrier
	ds_read2_b64 v[26:29], v36 offset1:32
	ds_read_b128 v[42:45], v37
	ds_read_b128 v[46:49], v37 offset:16
	ds_read_b128 v[50:53], v37 offset:32
	;; [unrolled: 1-line block ×3, first 2 shown]
	ds_read2_b64 v[58:61], v36 offset0:64 offset1:96
	s_waitcnt lgkmcnt(4)
	v_pk_fma_f32 v[24:25], v[26:27], v[42:43], v[24:25] op_sel_hi:[1,0,1]
	v_pk_fma_f32 v[24:25], v[26:27], v[42:43], v[24:25] op_sel:[1,1,0] op_sel_hi:[0,1,1] neg_lo:[1,0,0]
	v_pk_fma_f32 v[24:25], v[28:29], v[44:45], v[24:25] op_sel_hi:[1,0,1]
	v_mov_b32_e32 v26, v45
	v_pk_fma_f32 v[24:25], v[28:29], v[26:27], v[24:25] op_sel:[1,0,0] op_sel_hi:[0,0,1] neg_lo:[1,0,0]
	s_waitcnt lgkmcnt(0)
	v_pk_fma_f32 v[28:29], v[58:59], v[46:47], v[24:25] op_sel_hi:[1,0,1]
	ds_read2_b64 v[24:27], v36 offset0:128 offset1:160
	v_pk_fma_f32 v[28:29], v[58:59], v[46:47], v[28:29] op_sel:[1,1,0] op_sel_hi:[0,1,1] neg_lo:[1,0,0]
	v_pk_fma_f32 v[28:29], v[60:61], v[48:49], v[28:29] op_sel_hi:[1,0,1]
	v_mov_b32_e32 v42, v49
	v_pk_fma_f32 v[28:29], v[60:61], v[42:43], v[28:29] op_sel:[1,0,0] op_sel_hi:[0,0,1] neg_lo:[1,0,0]
	ds_read2_b64 v[42:45], v36 offset0:192 offset1:224
	s_waitcnt lgkmcnt(1)
	v_pk_fma_f32 v[28:29], v[24:25], v[50:51], v[28:29] op_sel_hi:[1,0,1]
	v_pk_fma_f32 v[24:25], v[24:25], v[50:51], v[28:29] op_sel:[1,1,0] op_sel_hi:[0,1,1] neg_lo:[1,0,0]
	v_pk_fma_f32 v[24:25], v[26:27], v[52:53], v[24:25] op_sel_hi:[1,0,1]
	v_mov_b32_e32 v28, v53
	v_pk_fma_f32 v[24:25], v[26:27], v[28:29], v[24:25] op_sel:[1,0,0] op_sel_hi:[0,0,1] neg_lo:[1,0,0]
	s_waitcnt lgkmcnt(0)
	v_pk_fma_f32 v[24:25], v[42:43], v[54:55], v[24:25] op_sel_hi:[1,0,1]
	v_pk_fma_f32 v[28:29], v[42:43], v[54:55], v[24:25] op_sel:[1,1,0] op_sel_hi:[0,1,1] neg_lo:[1,0,0]
	v_add_u32_e32 v54, 0x800, v36
	ds_read2_b64 v[24:27], v54 offset1:32
	ds_read_b128 v[46:49], v37 offset:64
	v_pk_fma_f32 v[28:29], v[44:45], v[56:57], v[28:29] op_sel_hi:[1,0,1]
	v_mov_b32_e32 v42, v57
	v_pk_fma_f32 v[28:29], v[44:45], v[42:43], v[28:29] op_sel:[1,0,0] op_sel_hi:[0,0,1] neg_lo:[1,0,0]
	ds_read_b128 v[42:45], v37 offset:80
	ds_read2_b64 v[50:53], v54 offset0:64 offset1:96
	s_waitcnt lgkmcnt(2)
	v_pk_fma_f32 v[28:29], v[24:25], v[46:47], v[28:29] op_sel_hi:[1,0,1]
	v_pk_fma_f32 v[24:25], v[24:25], v[46:47], v[28:29] op_sel:[1,1,0] op_sel_hi:[0,1,1] neg_lo:[1,0,0]
	v_pk_fma_f32 v[24:25], v[26:27], v[48:49], v[24:25] op_sel_hi:[1,0,1]
	v_mov_b32_e32 v28, v49
	v_pk_fma_f32 v[24:25], v[26:27], v[28:29], v[24:25] op_sel:[1,0,0] op_sel_hi:[0,0,1] neg_lo:[1,0,0]
	s_waitcnt lgkmcnt(0)
	v_pk_fma_f32 v[24:25], v[50:51], v[42:43], v[24:25] op_sel_hi:[1,0,1]
	v_pk_fma_f32 v[28:29], v[50:51], v[42:43], v[24:25] op_sel:[1,1,0] op_sel_hi:[0,1,1] neg_lo:[1,0,0]
	ds_read2_b64 v[24:27], v54 offset0:128 offset1:160
	ds_read_b128 v[46:49], v37 offset:96
	v_pk_fma_f32 v[28:29], v[52:53], v[44:45], v[28:29] op_sel_hi:[1,0,1]
	v_mov_b32_e32 v42, v45
	v_pk_fma_f32 v[28:29], v[52:53], v[42:43], v[28:29] op_sel:[1,0,0] op_sel_hi:[0,0,1] neg_lo:[1,0,0]
	ds_read_b128 v[42:45], v37 offset:112
	ds_read2_b64 v[50:53], v54 offset0:192 offset1:224
	s_waitcnt lgkmcnt(2)
	v_pk_fma_f32 v[28:29], v[24:25], v[46:47], v[28:29] op_sel_hi:[1,0,1]
	v_pk_fma_f32 v[24:25], v[24:25], v[46:47], v[28:29] op_sel:[1,1,0] op_sel_hi:[0,1,1] neg_lo:[1,0,0]
	v_pk_fma_f32 v[24:25], v[26:27], v[48:49], v[24:25] op_sel_hi:[1,0,1]
	v_mov_b32_e32 v28, v49
	v_pk_fma_f32 v[24:25], v[26:27], v[28:29], v[24:25] op_sel:[1,0,0] op_sel_hi:[0,0,1] neg_lo:[1,0,0]
	s_waitcnt lgkmcnt(0)
	v_pk_fma_f32 v[24:25], v[50:51], v[42:43], v[24:25] op_sel_hi:[1,0,1]
	v_add_u32_e32 v54, 0x1000, v36
	v_pk_fma_f32 v[28:29], v[50:51], v[42:43], v[24:25] op_sel:[1,1,0] op_sel_hi:[0,1,1] neg_lo:[1,0,0]
	ds_read2_b64 v[24:27], v54 offset1:32
	ds_read_b128 v[46:49], v37 offset:128
	v_pk_fma_f32 v[28:29], v[52:53], v[44:45], v[28:29] op_sel_hi:[1,0,1]
	v_mov_b32_e32 v42, v45
	v_pk_fma_f32 v[28:29], v[52:53], v[42:43], v[28:29] op_sel:[1,0,0] op_sel_hi:[0,0,1] neg_lo:[1,0,0]
	ds_read_b128 v[42:45], v37 offset:144
	ds_read2_b64 v[50:53], v54 offset0:64 offset1:96
	s_waitcnt lgkmcnt(2)
	v_pk_fma_f32 v[28:29], v[24:25], v[46:47], v[28:29] op_sel_hi:[1,0,1]
	v_pk_fma_f32 v[24:25], v[24:25], v[46:47], v[28:29] op_sel:[1,1,0] op_sel_hi:[0,1,1] neg_lo:[1,0,0]
	v_pk_fma_f32 v[24:25], v[26:27], v[48:49], v[24:25] op_sel_hi:[1,0,1]
	v_mov_b32_e32 v28, v49
	v_pk_fma_f32 v[24:25], v[26:27], v[28:29], v[24:25] op_sel:[1,0,0] op_sel_hi:[0,0,1] neg_lo:[1,0,0]
	s_waitcnt lgkmcnt(0)
	v_pk_fma_f32 v[24:25], v[50:51], v[42:43], v[24:25] op_sel_hi:[1,0,1]
	v_pk_fma_f32 v[28:29], v[50:51], v[42:43], v[24:25] op_sel:[1,1,0] op_sel_hi:[0,1,1] neg_lo:[1,0,0]
	ds_read2_b64 v[24:27], v54 offset0:128 offset1:160
	ds_read_b128 v[46:49], v37 offset:160
	v_pk_fma_f32 v[28:29], v[52:53], v[44:45], v[28:29] op_sel_hi:[1,0,1]
	v_mov_b32_e32 v42, v45
	v_pk_fma_f32 v[28:29], v[52:53], v[42:43], v[28:29] op_sel:[1,0,0] op_sel_hi:[0,0,1] neg_lo:[1,0,0]
	ds_read_b128 v[42:45], v37 offset:176
	ds_read2_b64 v[50:53], v54 offset0:192 offset1:224
	s_waitcnt lgkmcnt(2)
	v_pk_fma_f32 v[28:29], v[24:25], v[46:47], v[28:29] op_sel_hi:[1,0,1]
	v_pk_fma_f32 v[24:25], v[24:25], v[46:47], v[28:29] op_sel:[1,1,0] op_sel_hi:[0,1,1] neg_lo:[1,0,0]
	v_pk_fma_f32 v[24:25], v[26:27], v[48:49], v[24:25] op_sel_hi:[1,0,1]
	v_mov_b32_e32 v28, v49
	v_pk_fma_f32 v[24:25], v[26:27], v[28:29], v[24:25] op_sel:[1,0,0] op_sel_hi:[0,0,1] neg_lo:[1,0,0]
	s_waitcnt lgkmcnt(0)
	v_pk_fma_f32 v[24:25], v[50:51], v[42:43], v[24:25] op_sel_hi:[1,0,1]
	v_add_u32_e32 v54, 0x1800, v36
	v_pk_fma_f32 v[28:29], v[50:51], v[42:43], v[24:25] op_sel:[1,1,0] op_sel_hi:[0,1,1] neg_lo:[1,0,0]
	ds_read2_b64 v[24:27], v54 offset1:32
	ds_read_b128 v[46:49], v37 offset:192
	v_pk_fma_f32 v[28:29], v[52:53], v[44:45], v[28:29] op_sel_hi:[1,0,1]
	v_mov_b32_e32 v42, v45
	v_pk_fma_f32 v[28:29], v[52:53], v[42:43], v[28:29] op_sel:[1,0,0] op_sel_hi:[0,0,1] neg_lo:[1,0,0]
	ds_read_b128 v[42:45], v37 offset:208
	ds_read2_b64 v[50:53], v54 offset0:64 offset1:96
	s_waitcnt lgkmcnt(2)
	v_pk_fma_f32 v[28:29], v[24:25], v[46:47], v[28:29] op_sel_hi:[1,0,1]
	v_pk_fma_f32 v[24:25], v[24:25], v[46:47], v[28:29] op_sel:[1,1,0] op_sel_hi:[0,1,1] neg_lo:[1,0,0]
	v_pk_fma_f32 v[24:25], v[26:27], v[48:49], v[24:25] op_sel_hi:[1,0,1]
	v_mov_b32_e32 v28, v49
	v_pk_fma_f32 v[24:25], v[26:27], v[28:29], v[24:25] op_sel:[1,0,0] op_sel_hi:[0,0,1] neg_lo:[1,0,0]
	s_waitcnt lgkmcnt(0)
	v_pk_fma_f32 v[24:25], v[50:51], v[42:43], v[24:25] op_sel_hi:[1,0,1]
	v_pk_fma_f32 v[28:29], v[50:51], v[42:43], v[24:25] op_sel:[1,1,0] op_sel_hi:[0,1,1] neg_lo:[1,0,0]
	ds_read2_b64 v[24:27], v54 offset0:128 offset1:160
	ds_read_b128 v[46:49], v37 offset:224
	v_pk_fma_f32 v[28:29], v[52:53], v[44:45], v[28:29] op_sel_hi:[1,0,1]
	v_mov_b32_e32 v42, v45
	v_pk_fma_f32 v[28:29], v[52:53], v[42:43], v[28:29] op_sel:[1,0,0] op_sel_hi:[0,0,1] neg_lo:[1,0,0]
	ds_read_b128 v[42:45], v37 offset:240
	ds_read2_b64 v[50:53], v54 offset0:192 offset1:224
	s_waitcnt lgkmcnt(2)
	v_pk_fma_f32 v[28:29], v[24:25], v[46:47], v[28:29] op_sel_hi:[1,0,1]
	v_pk_fma_f32 v[24:25], v[24:25], v[46:47], v[28:29] op_sel:[1,1,0] op_sel_hi:[0,1,1] neg_lo:[1,0,0]
	v_pk_fma_f32 v[24:25], v[26:27], v[48:49], v[24:25] op_sel_hi:[1,0,1]
	v_mov_b32_e32 v28, v49
	v_pk_fma_f32 v[24:25], v[26:27], v[28:29], v[24:25] op_sel:[1,0,0] op_sel_hi:[0,0,1] neg_lo:[1,0,0]
	s_waitcnt lgkmcnt(0)
	v_pk_fma_f32 v[24:25], v[50:51], v[42:43], v[24:25] op_sel_hi:[1,0,1]
	v_add_co_u32_e32 v20, vcc, 0x100, v20
	v_pk_fma_f32 v[24:25], v[50:51], v[42:43], v[24:25] op_sel:[1,1,0] op_sel_hi:[0,1,1] neg_lo:[1,0,0]
	v_addc_co_u32_e32 v21, vcc, 0, v21, vcc
	v_pk_fma_f32 v[24:25], v[52:53], v[44:45], v[24:25] op_sel_hi:[1,0,1]
	v_mov_b32_e32 v26, v45
	s_add_u32 s46, s46, 32
	v_add_co_u32_e32 v22, vcc, 0x100, v22
	v_pk_fma_f32 v[24:25], v[52:53], v[26:27], v[24:25] op_sel:[1,0,0] op_sel_hi:[0,0,1] neg_lo:[1,0,0]
	s_addc_u32 s47, s47, 0
	v_addc_co_u32_e32 v23, vcc, 0, v23, vcc
	v_pk_mov_b32 v[26:27], s[28:29], s[28:29] op_sel:[0,1]
	v_cmp_ge_i64_e32 vcc, s[46:47], v[26:27]
	s_barrier
	s_cbranch_vccnz .LBB8_20
.LBB8_23:                               ;   Parent Loop BB8_18 Depth=1
                                        ;     Parent Loop BB8_21 Depth=2
                                        ; =>    This Inner Loop Header: Depth=3
	s_and_b64 vcc, exec, s[34:35]
	s_cbranch_vccz .LBB8_29
; %bb.24:                               ;   in Loop: Header=BB8_23 Depth=3
	s_mov_b64 s[50:51], 0
	s_mov_b64 s[48:49], 0
                                        ; implicit-def: $vgpr26_vgpr27
	s_and_saveexec_b64 s[52:53], s[0:1]
	s_cbranch_execz .LBB8_28
; %bb.25:                               ;   in Loop: Header=BB8_23 Depth=3
	v_mov_b32_e32 v26, s47
	v_add_co_u32_e32 v28, vcc, s46, v0
	v_addc_co_u32_e32 v29, vcc, 0, v26, vcc
	v_cmp_gt_i64_e32 vcc, s[28:29], v[28:29]
                                        ; implicit-def: $vgpr26_vgpr27
	s_and_saveexec_b64 s[54:55], vcc
	s_xor_b64 s[54:55], exec, s[54:55]
; %bb.26:                               ;   in Loop: Header=BB8_23 Depth=3
	v_mov_b32_e32 v26, s31
	v_add_co_u32_e32 v27, vcc, s58, v28
	v_addc_co_u32_e32 v26, vcc, v29, v26, vcc
	v_mul_lo_u32 v28, v26, s18
	v_mul_lo_u32 v29, v27, s19
	v_mad_u64_u32 v[26:27], s[60:61], v27, s18, 0
	v_add3_u32 v27, v27, v29, v28
	v_lshlrev_b64 v[26:27], 3, v[26:27]
	v_add_co_u32_e32 v26, vcc, v30, v26
	s_mov_b64 s[48:49], exec
	v_addc_co_u32_e32 v27, vcc, v31, v27, vcc
; %bb.27:                               ;   in Loop: Header=BB8_23 Depth=3
	s_or_b64 exec, exec, s[54:55]
	s_and_b64 s[48:49], s[48:49], exec
.LBB8_28:                               ;   in Loop: Header=BB8_23 Depth=3
	s_or_b64 exec, exec, s[52:53]
	s_mov_b32 s52, 0
	s_and_b64 vcc, exec, s[50:51]
	s_cbranch_vccnz .LBB8_30
	s_branch .LBB8_33
.LBB8_29:                               ;   in Loop: Header=BB8_23 Depth=3
	s_mov_b64 s[48:49], 0
                                        ; implicit-def: $vgpr26_vgpr27
                                        ; implicit-def: $sgpr52
	s_cbranch_execz .LBB8_33
.LBB8_30:                               ;   in Loop: Header=BB8_23 Depth=3
	s_and_saveexec_b64 s[50:51], s[0:1]
; %bb.31:                               ;   in Loop: Header=BB8_23 Depth=3
	v_mov_b32_e32 v27, s47
	v_add_co_u32_e32 v26, vcc, s46, v0
	v_addc_co_u32_e32 v27, vcc, 0, v27, vcc
	v_cmp_gt_i64_e32 vcc, s[28:29], v[26:27]
	s_andn2_b64 s[48:49], s[48:49], exec
	s_and_b64 s[52:53], vcc, exec
	s_or_b64 s[48:49], s[48:49], s[52:53]
; %bb.32:                               ;   in Loop: Header=BB8_23 Depth=3
	s_or_b64 exec, exec, s[50:51]
	s_mov_b32 s52, 0
	v_pk_mov_b32 v[26:27], v[20:21], v[20:21] op_sel:[0,1]
.LBB8_33:                               ;   in Loop: Header=BB8_23 Depth=3
	v_mov_b32_e32 v28, s52
	v_mov_b32_e32 v29, s52
	s_and_saveexec_b64 s[50:51], s[48:49]
	s_cbranch_execnz .LBB8_41
; %bb.34:                               ;   in Loop: Header=BB8_23 Depth=3
	s_or_b64 exec, exec, s[50:51]
	s_and_b64 vcc, exec, s[26:27]
	ds_write_b64 v33, v[28:29]
	s_cbranch_vccz .LBB8_42
.LBB8_35:                               ;   in Loop: Header=BB8_23 Depth=3
	s_mov_b64 s[50:51], 0
	s_mov_b64 s[48:49], 0
                                        ; implicit-def: $vgpr26_vgpr27
	s_and_saveexec_b64 s[52:53], s[4:5]
	s_cbranch_execz .LBB8_39
; %bb.36:                               ;   in Loop: Header=BB8_23 Depth=3
	v_mov_b32_e32 v26, s47
	v_add_co_u32_e32 v28, vcc, s46, v6
	v_addc_co_u32_e32 v29, vcc, 0, v26, vcc
	v_cmp_gt_i64_e32 vcc, s[28:29], v[28:29]
                                        ; implicit-def: $vgpr26_vgpr27
	s_and_saveexec_b64 s[54:55], vcc
	s_xor_b64 s[54:55], exec, s[54:55]
; %bb.37:                               ;   in Loop: Header=BB8_23 Depth=3
	v_mul_lo_u32 v29, v29, s28
	v_mul_lo_u32 v42, v28, s29
	v_mad_u64_u32 v[26:27], s[60:61], v28, s28, 0
	v_add3_u32 v27, v27, v42, v29
	v_lshlrev_b64 v[26:27], 3, v[26:27]
	v_add_co_u32_e32 v26, vcc, v40, v26
	s_mov_b64 s[48:49], exec
	v_addc_co_u32_e32 v27, vcc, v41, v27, vcc
; %bb.38:                               ;   in Loop: Header=BB8_23 Depth=3
	s_or_b64 exec, exec, s[54:55]
	s_and_b64 s[48:49], s[48:49], exec
.LBB8_39:                               ;   in Loop: Header=BB8_23 Depth=3
	s_or_b64 exec, exec, s[52:53]
	s_mov_b32 s52, 0
	s_and_b64 vcc, exec, s[50:51]
	s_cbranch_vccnz .LBB8_43
.LBB8_40:                               ;   in Loop: Header=BB8_23 Depth=3
	v_mov_b32_e32 v28, s52
	v_mov_b32_e32 v29, s52
	s_and_saveexec_b64 s[50:51], s[48:49]
	s_cbranch_execz .LBB8_22
	s_branch .LBB8_46
.LBB8_41:                               ;   in Loop: Header=BB8_23 Depth=3
	global_load_dwordx2 v[28:29], v[26:27], off
	s_or_b64 exec, exec, s[50:51]
	s_and_b64 vcc, exec, s[26:27]
	s_waitcnt vmcnt(0)
	ds_write_b64 v33, v[28:29]
	s_cbranch_vccnz .LBB8_35
.LBB8_42:                               ;   in Loop: Header=BB8_23 Depth=3
	s_mov_b64 s[48:49], 0
                                        ; implicit-def: $vgpr26_vgpr27
                                        ; implicit-def: $sgpr52
	s_cbranch_execz .LBB8_40
.LBB8_43:                               ;   in Loop: Header=BB8_23 Depth=3
	s_and_saveexec_b64 s[50:51], s[4:5]
; %bb.44:                               ;   in Loop: Header=BB8_23 Depth=3
	v_mov_b32_e32 v27, s47
	v_add_co_u32_e32 v26, vcc, s46, v6
	v_addc_co_u32_e32 v27, vcc, 0, v27, vcc
	v_cmp_gt_i64_e32 vcc, s[28:29], v[26:27]
	s_andn2_b64 s[48:49], s[48:49], exec
	s_and_b64 s[52:53], vcc, exec
	s_or_b64 s[48:49], s[48:49], s[52:53]
; %bb.45:                               ;   in Loop: Header=BB8_23 Depth=3
	s_or_b64 exec, exec, s[50:51]
	s_mov_b32 s52, 0
	v_pk_mov_b32 v[26:27], v[22:23], v[22:23] op_sel:[0,1]
	v_mov_b32_e32 v28, s52
	v_mov_b32_e32 v29, s52
	s_and_saveexec_b64 s[50:51], s[48:49]
	s_cbranch_execz .LBB8_22
.LBB8_46:                               ;   in Loop: Header=BB8_23 Depth=3
	global_load_dwordx2 v[28:29], v[26:27], off
	s_branch .LBB8_22
.LBB8_47:                               ;   in Loop: Header=BB8_18 Depth=1
	v_cmp_gt_i64_e32 vcc, s[28:29], v[16:17]
	s_and_b64 s[44:45], s[36:37], vcc
	s_and_saveexec_b64 s[4:5], s[44:45]
	s_cbranch_execz .LBB8_17
; %bb.48:                               ;   in Loop: Header=BB8_18 Depth=1
	v_mov_b32_e32 v18, s33
	v_add_co_u32_e32 v16, vcc, s56, v16
	v_addc_co_u32_e32 v17, vcc, v17, v18, vcc
	s_and_saveexec_b64 s[44:45], s[38:39]
	s_xor_b64 s[44:45], exec, s[44:45]
	s_cbranch_execz .LBB8_53
; %bb.49:                               ;   in Loop: Header=BB8_18 Depth=1
	s_mov_b64 s[46:47], -1
	s_and_b64 vcc, exec, s[20:21]
	s_cbranch_vccz .LBB8_51
; %bb.50:                               ;   in Loop: Header=BB8_18 Depth=1
	v_mul_lo_u32 v20, v17, s14
	v_mul_lo_u32 v21, v16, s15
	v_mad_u64_u32 v[18:19], s[46:47], v16, s14, 0
	v_add3_u32 v19, v19, v21, v20
	v_lshlrev_b64 v[18:19], 3, v[18:19]
	v_add_co_u32_e32 v18, vcc, v1, v18
	v_addc_co_u32_e32 v19, vcc, v7, v19, vcc
	global_load_dwordx2 v[20:21], v[18:19], off
	v_pk_mul_f32 v[22:23], v[24:25], v[8:9] op_sel:[1,0]
	v_pk_fma_f32 v[22:23], v[2:3], v[24:25], v[22:23] op_sel_hi:[1,0,1]
	s_mov_b64 s[46:47], 0
	s_waitcnt vmcnt(0)
	v_pk_fma_f32 v[22:23], v[4:5], v[20:21], v[22:23] op_sel_hi:[1,0,1]
	v_pk_fma_f32 v[20:21], v[10:11], v[20:21], v[22:23] op_sel:[0,1,0]
	global_store_dwordx2 v[18:19], v[20:21], off
.LBB8_51:                               ;   in Loop: Header=BB8_18 Depth=1
	s_andn2_b64 vcc, exec, s[46:47]
	s_cbranch_vccnz .LBB8_53
; %bb.52:                               ;   in Loop: Header=BB8_18 Depth=1
	v_lshlrev_b64 v[16:17], 3, v[16:17]
	v_add_co_u32_e32 v16, vcc, v34, v16
	v_addc_co_u32_e32 v17, vcc, v35, v17, vcc
	global_load_dwordx2 v[18:19], v[16:17], off
	v_pk_mul_f32 v[20:21], v[24:25], v[8:9] op_sel:[1,0]
	v_pk_fma_f32 v[20:21], v[2:3], v[24:25], v[20:21] op_sel_hi:[1,0,1]
                                        ; implicit-def: $vgpr24_vgpr25
	s_waitcnt vmcnt(0)
	v_pk_fma_f32 v[20:21], v[4:5], v[18:19], v[20:21] op_sel_hi:[1,0,1]
	v_pk_fma_f32 v[18:19], v[10:11], v[18:19], v[20:21] op_sel:[0,1,0]
	global_store_dwordx2 v[16:17], v[18:19], off
                                        ; implicit-def: $vgpr16_vgpr17
.LBB8_53:                               ;   in Loop: Header=BB8_18 Depth=1
	s_andn2_saveexec_b64 s[44:45], s[44:45]
	s_cbranch_execz .LBB8_17
; %bb.54:                               ;   in Loop: Header=BB8_18 Depth=1
	v_pk_mul_f32 v[18:19], v[24:25], v[8:9] op_sel:[1,0]
	v_pk_fma_f32 v[18:19], v[2:3], v[24:25], v[18:19] op_sel_hi:[1,0,1]
	s_mov_b64 s[44:45], -1
	s_and_b64 vcc, exec, s[20:21]
	s_cbranch_vccz .LBB8_56
; %bb.55:                               ;   in Loop: Header=BB8_18 Depth=1
	v_mul_lo_u32 v22, v17, s14
	v_mul_lo_u32 v23, v16, s15
	v_mad_u64_u32 v[20:21], s[44:45], v16, s14, 0
	v_add3_u32 v21, v21, v23, v22
	v_lshlrev_b64 v[20:21], 3, v[20:21]
	v_add_co_u32_e32 v20, vcc, v1, v20
	v_addc_co_u32_e32 v21, vcc, v7, v21, vcc
	global_store_dwordx2 v[20:21], v[18:19], off
	s_mov_b64 s[44:45], 0
.LBB8_56:                               ;   in Loop: Header=BB8_18 Depth=1
	s_andn2_b64 vcc, exec, s[44:45]
	s_cbranch_vccnz .LBB8_17
; %bb.57:                               ;   in Loop: Header=BB8_18 Depth=1
	v_lshlrev_b64 v[16:17], 3, v[16:17]
	v_add_co_u32_e32 v16, vcc, v34, v16
	v_addc_co_u32_e32 v17, vcc, v35, v17, vcc
	global_store_dwordx2 v[16:17], v[18:19], off
	s_branch .LBB8_17
.LBB8_58:
	s_endpgm
	.section	.rodata,"a",@progbits
	.p2align	6, 0x0
	.amdhsa_kernel _ZN9rocsparseL29bsrmm_general_blockdim_kernelILj32ELj32Ell21rocsparse_complex_numIfES2_S2_S2_EEvb20rocsparse_direction_T2_S4_llNS_24const_host_device_scalarIT6_EEPKT1_PKS4_PKT3_S4_PKT4_llS7_PT5_ll16rocsparse_order_21rocsparse_index_base_b
		.amdhsa_group_segment_fixed_size 16384
		.amdhsa_private_segment_fixed_size 0
		.amdhsa_kernarg_size 148
		.amdhsa_user_sgpr_count 6
		.amdhsa_user_sgpr_private_segment_buffer 1
		.amdhsa_user_sgpr_dispatch_ptr 0
		.amdhsa_user_sgpr_queue_ptr 0
		.amdhsa_user_sgpr_kernarg_segment_ptr 1
		.amdhsa_user_sgpr_dispatch_id 0
		.amdhsa_user_sgpr_flat_scratch_init 0
		.amdhsa_user_sgpr_kernarg_preload_length 0
		.amdhsa_user_sgpr_kernarg_preload_offset 0
		.amdhsa_user_sgpr_private_segment_size 0
		.amdhsa_uses_dynamic_stack 0
		.amdhsa_system_sgpr_private_segment_wavefront_offset 0
		.amdhsa_system_sgpr_workgroup_id_x 1
		.amdhsa_system_sgpr_workgroup_id_y 1
		.amdhsa_system_sgpr_workgroup_id_z 0
		.amdhsa_system_sgpr_workgroup_info 0
		.amdhsa_system_vgpr_workitem_id 1
		.amdhsa_next_free_vgpr 62
		.amdhsa_next_free_sgpr 62
		.amdhsa_accum_offset 64
		.amdhsa_reserve_vcc 1
		.amdhsa_reserve_flat_scratch 0
		.amdhsa_float_round_mode_32 0
		.amdhsa_float_round_mode_16_64 0
		.amdhsa_float_denorm_mode_32 3
		.amdhsa_float_denorm_mode_16_64 3
		.amdhsa_dx10_clamp 1
		.amdhsa_ieee_mode 1
		.amdhsa_fp16_overflow 0
		.amdhsa_tg_split 0
		.amdhsa_exception_fp_ieee_invalid_op 0
		.amdhsa_exception_fp_denorm_src 0
		.amdhsa_exception_fp_ieee_div_zero 0
		.amdhsa_exception_fp_ieee_overflow 0
		.amdhsa_exception_fp_ieee_underflow 0
		.amdhsa_exception_fp_ieee_inexact 0
		.amdhsa_exception_int_div_zero 0
	.end_amdhsa_kernel
	.section	.text._ZN9rocsparseL29bsrmm_general_blockdim_kernelILj32ELj32Ell21rocsparse_complex_numIfES2_S2_S2_EEvb20rocsparse_direction_T2_S4_llNS_24const_host_device_scalarIT6_EEPKT1_PKS4_PKT3_S4_PKT4_llS7_PT5_ll16rocsparse_order_21rocsparse_index_base_b,"axG",@progbits,_ZN9rocsparseL29bsrmm_general_blockdim_kernelILj32ELj32Ell21rocsparse_complex_numIfES2_S2_S2_EEvb20rocsparse_direction_T2_S4_llNS_24const_host_device_scalarIT6_EEPKT1_PKS4_PKT3_S4_PKT4_llS7_PT5_ll16rocsparse_order_21rocsparse_index_base_b,comdat
.Lfunc_end8:
	.size	_ZN9rocsparseL29bsrmm_general_blockdim_kernelILj32ELj32Ell21rocsparse_complex_numIfES2_S2_S2_EEvb20rocsparse_direction_T2_S4_llNS_24const_host_device_scalarIT6_EEPKT1_PKS4_PKT3_S4_PKT4_llS7_PT5_ll16rocsparse_order_21rocsparse_index_base_b, .Lfunc_end8-_ZN9rocsparseL29bsrmm_general_blockdim_kernelILj32ELj32Ell21rocsparse_complex_numIfES2_S2_S2_EEvb20rocsparse_direction_T2_S4_llNS_24const_host_device_scalarIT6_EEPKT1_PKS4_PKT3_S4_PKT4_llS7_PT5_ll16rocsparse_order_21rocsparse_index_base_b
                                        ; -- End function
	.section	.AMDGPU.csdata,"",@progbits
; Kernel info:
; codeLenInByte = 3100
; NumSgprs: 66
; NumVgprs: 62
; NumAgprs: 0
; TotalNumVgprs: 62
; ScratchSize: 0
; MemoryBound: 0
; FloatMode: 240
; IeeeMode: 1
; LDSByteSize: 16384 bytes/workgroup (compile time only)
; SGPRBlocks: 8
; VGPRBlocks: 7
; NumSGPRsForWavesPerEU: 66
; NumVGPRsForWavesPerEU: 62
; AccumOffset: 64
; Occupancy: 8
; WaveLimiterHint : 1
; COMPUTE_PGM_RSRC2:SCRATCH_EN: 0
; COMPUTE_PGM_RSRC2:USER_SGPR: 6
; COMPUTE_PGM_RSRC2:TRAP_HANDLER: 0
; COMPUTE_PGM_RSRC2:TGID_X_EN: 1
; COMPUTE_PGM_RSRC2:TGID_Y_EN: 1
; COMPUTE_PGM_RSRC2:TGID_Z_EN: 0
; COMPUTE_PGM_RSRC2:TIDIG_COMP_CNT: 1
; COMPUTE_PGM_RSRC3_GFX90A:ACCUM_OFFSET: 15
; COMPUTE_PGM_RSRC3_GFX90A:TG_SPLIT: 0
	.section	.text._ZN9rocsparseL29bsrmm_general_blockdim_kernelILj32ELj32Eii21rocsparse_complex_numIdES2_S2_S2_EEvb20rocsparse_direction_T2_S4_llNS_24const_host_device_scalarIT6_EEPKT1_PKS4_PKT3_S4_PKT4_llS7_PT5_ll16rocsparse_order_21rocsparse_index_base_b,"axG",@progbits,_ZN9rocsparseL29bsrmm_general_blockdim_kernelILj32ELj32Eii21rocsparse_complex_numIdES2_S2_S2_EEvb20rocsparse_direction_T2_S4_llNS_24const_host_device_scalarIT6_EEPKT1_PKS4_PKT3_S4_PKT4_llS7_PT5_ll16rocsparse_order_21rocsparse_index_base_b,comdat
	.globl	_ZN9rocsparseL29bsrmm_general_blockdim_kernelILj32ELj32Eii21rocsparse_complex_numIdES2_S2_S2_EEvb20rocsparse_direction_T2_S4_llNS_24const_host_device_scalarIT6_EEPKT1_PKS4_PKT3_S4_PKT4_llS7_PT5_ll16rocsparse_order_21rocsparse_index_base_b ; -- Begin function _ZN9rocsparseL29bsrmm_general_blockdim_kernelILj32ELj32Eii21rocsparse_complex_numIdES2_S2_S2_EEvb20rocsparse_direction_T2_S4_llNS_24const_host_device_scalarIT6_EEPKT1_PKS4_PKT3_S4_PKT4_llS7_PT5_ll16rocsparse_order_21rocsparse_index_base_b
	.p2align	8
	.type	_ZN9rocsparseL29bsrmm_general_blockdim_kernelILj32ELj32Eii21rocsparse_complex_numIdES2_S2_S2_EEvb20rocsparse_direction_T2_S4_llNS_24const_host_device_scalarIT6_EEPKT1_PKS4_PKT3_S4_PKT4_llS7_PT5_ll16rocsparse_order_21rocsparse_index_base_b,@function
_ZN9rocsparseL29bsrmm_general_blockdim_kernelILj32ELj32Eii21rocsparse_complex_numIdES2_S2_S2_EEvb20rocsparse_direction_T2_S4_llNS_24const_host_device_scalarIT6_EEPKT1_PKS4_PKT3_S4_PKT4_llS7_PT5_ll16rocsparse_order_21rocsparse_index_base_b: ; @_ZN9rocsparseL29bsrmm_general_blockdim_kernelILj32ELj32Eii21rocsparse_complex_numIdES2_S2_S2_EEvb20rocsparse_direction_T2_S4_llNS_24const_host_device_scalarIT6_EEPKT1_PKS4_PKT3_S4_PKT4_llS7_PT5_ll16rocsparse_order_21rocsparse_index_base_b
; %bb.0:
	s_add_u32 flat_scratch_lo, s6, s10
	s_load_dwordx4 s[12:15], s[4:5], 0x90
	s_load_dwordx4 s[20:23], s[4:5], 0x20
	s_addc_u32 flat_scratch_hi, s7, 0
	s_add_u32 s0, s0, s10
	s_load_dwordx4 s[16:19], s[4:5], 0x68
	s_addc_u32 s1, s1, 0
	s_waitcnt lgkmcnt(0)
	s_bitcmp1_b32 s14, 0
	v_mov_b32_e32 v1, 0
	v_mov_b32_e32 v3, s20
	s_cselect_b64 s[6:7], -1, 0
	v_cndmask_b32_e64 v2, v3, v1, s[6:7]
	v_mov_b32_e32 v1, s21
	s_mov_b64 s[14:15], src_private_base
	s_and_b64 vcc, s[6:7], exec
	buffer_store_dword v1, off, s[0:3], 0 offset:4
	buffer_store_dword v3, off, s[0:3], 0
	v_mov_b32_e32 v1, s17
	s_mov_b32 s10, s9
	s_cselect_b32 s9, s15, s21
	buffer_store_dword v1, off, s[0:3], 0 offset:12
	v_mov_b32_e32 v1, s16
	buffer_store_dword v1, off, s[0:3], 0 offset:8
	v_mov_b32_e32 v3, s9
	flat_load_dwordx2 v[4:5], v[2:3]
	s_xor_b64 s[24:25], s[6:7], -1
	v_pk_mov_b32 v[6:7], s[22:23], s[22:23] op_sel:[0,1]
	s_cbranch_vccnz .LBB9_2
; %bb.1:
	v_pk_mov_b32 v[2:3], s[20:21], s[20:21] op_sel:[0,1]
	flat_load_dwordx2 v[6:7], v[2:3] offset:8
.LBB9_2:
	s_and_b64 s[20:21], s[6:7], exec
	s_cselect_b32 s9, s15, s17
	v_mov_b32_e32 v1, 8
	v_mov_b32_e32 v2, s16
	v_cndmask_b32_e64 v2, v2, v1, s[6:7]
	v_mov_b32_e32 v3, s9
	flat_load_dwordx2 v[8:9], v[2:3]
	s_andn2_b64 vcc, exec, s[24:25]
	v_pk_mov_b32 v[10:11], s[18:19], s[18:19] op_sel:[0,1]
	s_cbranch_vccnz .LBB9_4
; %bb.3:
	v_pk_mov_b32 v[2:3], s[16:17], s[16:17] op_sel:[0,1]
	flat_load_dwordx2 v[10:11], v[2:3] offset:8
.LBB9_4:
	s_waitcnt vmcnt(0) lgkmcnt(0)
	v_cmp_eq_f64_e32 vcc, 0, v[4:5]
	v_cmp_eq_f64_e64 s[6:7], 0, v[6:7]
	s_and_b64 s[16:17], vcc, s[6:7]
	s_mov_b64 s[6:7], -1
	s_and_saveexec_b64 s[14:15], s[16:17]
; %bb.5:
	v_cmp_neq_f64_e32 vcc, 1.0, v[8:9]
	v_cmp_neq_f64_e64 s[6:7], 0, v[10:11]
	s_or_b64 s[6:7], vcc, s[6:7]
	s_orn2_b64 s[6:7], s[6:7], exec
; %bb.6:
	s_or_b64 exec, exec, s[14:15]
	s_and_saveexec_b64 s[14:15], s[6:7]
	s_cbranch_execz .LBB9_58
; %bb.7:
	s_load_dwordx4 s[28:31], s[4:5], 0x0
	s_load_dwordx2 s[14:15], s[4:5], 0x30
	s_mov_b32 s33, 0
	s_mov_b32 s42, 0
	s_waitcnt lgkmcnt(0)
	s_cmp_lt_i32 s8, s30
	s_cselect_b64 s[6:7], -1, 0
	s_cmp_ge_i32 s8, s30
	s_cbranch_scc0 .LBB9_10
; %bb.8:
	s_andn2_b64 vcc, exec, s[6:7]
	s_cbranch_vccz .LBB9_11
.LBB9_9:
	s_load_dword s43, s[4:5], 0x48
	s_waitcnt lgkmcnt(0)
	s_cmp_lt_i32 s43, 1
	s_cbranch_scc0 .LBB9_12
	s_branch .LBB9_58
.LBB9_10:
	s_ashr_i32 s9, s8, 31
	s_lshl_b64 s[16:17], s[8:9], 2
	s_add_u32 s16, s14, s16
	s_addc_u32 s17, s15, s17
	s_load_dword s9, s[16:17], 0x0
	s_waitcnt lgkmcnt(0)
	s_sub_i32 s42, s9, s13
	s_andn2_b64 vcc, exec, s[6:7]
	s_cbranch_vccnz .LBB9_9
.LBB9_11:
	s_ashr_i32 s9, s8, 31
	s_lshl_b64 s[16:17], s[8:9], 2
	s_add_u32 s14, s14, s16
	s_addc_u32 s15, s15, s17
	s_load_dword s9, s[14:15], 0x4
	s_waitcnt lgkmcnt(0)
	s_sub_i32 s33, s9, s13
	s_load_dword s43, s[4:5], 0x48
	s_waitcnt lgkmcnt(0)
	s_cmp_lt_i32 s43, 1
	s_cbranch_scc1 .LBB9_58
.LBB9_12:
	s_load_dwordx4 s[16:19], s[4:5], 0x78
	s_load_dwordx4 s[20:23], s[4:5], 0x38
	;; [unrolled: 1-line block ×3, first 2 shown]
	v_bfe_u32 v12, v0, 10, 10
	v_and_b32_e32 v13, 0x3ff, v0
	v_lshl_add_u32 v0, s10, 5, v12
	v_ashrrev_i32_e32 v1, 31, v0
	v_lshlrev_b32_e32 v14, 5, v12
	s_bitcmp1_b32 s28, 0
	v_lshlrev_b64 v[2:3], 4, v[0:1]
	v_add_lshl_u32 v26, v14, v13, 4
	s_waitcnt lgkmcnt(0)
	v_mul_lo_u32 v17, v1, s26
	v_mul_lo_u32 v18, v0, s27
	v_mad_u64_u32 v[14:15], s[10:11], v0, s26, 0
	s_cselect_b64 s[4:5], -1, 0
	v_mov_b32_e32 v16, s25
	v_add_co_u32_e32 v24, vcc, s24, v2
	v_add3_u32 v15, v15, v18, v17
	s_xor_b64 s[14:15], s[4:5], -1
	v_addc_co_u32_e32 v25, vcc, v16, v3, vcc
	v_lshlrev_b64 v[14:15], 4, v[14:15]
	s_cmp_lt_i32 s42, s33
	v_add_co_u32_e32 v28, vcc, s24, v14
	s_mul_i32 s44, s8, s43
	s_cselect_b64 s[8:9], -1, 0
	v_cmp_gt_i32_e64 s[4:5], s31, v0
	v_addc_co_u32_e32 v29, vcc, v16, v15, vcc
	s_cmp_lg_u32 s29, 0
	s_cselect_b64 s[10:11], -1, 0
	s_and_b64 s[24:25], s[6:7], s[4:5]
	v_cmp_neq_f64_e32 vcc, 0, v[8:9]
	v_cmp_neq_f64_e64 s[6:7], 0, v[10:11]
	s_or_b64 s[28:29], vcc, s[6:7]
	v_mov_b32_e32 v14, s17
	v_add_co_u32_e32 v30, vcc, s16, v2
	v_addc_co_u32_e32 v31, vcc, v14, v3, vcc
	v_mul_lo_u32 v2, v1, s18
	v_mul_lo_u32 v3, v0, s19
	v_mad_u64_u32 v[0:1], s[6:7], v0, s18, 0
	v_add3_u32 v1, v1, v3, v2
	v_lshlrev_b64 v[0:1], 4, v[0:1]
	v_add_co_u32_e32 v32, vcc, s16, v0
	v_mov_b32_e32 v0, 0x4000
	s_mul_i32 s6, s42, s43
	v_lshl_add_u32 v35, v12, 9, v0
	v_add_u32_e32 v0, s6, v13
	s_cmp_lg_u32 s12, 1
	v_addc_co_u32_e32 v33, vcc, v14, v1, vcc
	v_mad_u64_u32 v[14:15], s[6:7], s43, v0, v[12:13]
	v_cndmask_b32_e64 v0, 0, 1, s[8:9]
	v_add_u32_e32 v27, 0x4000, v26
	s_mov_b32 s45, 0
	s_cselect_b64 s[30:31], -1, 0
	v_lshlrev_b32_e32 v34, 4, v13
	s_lshl_b32 s12, s43, 5
	s_mul_i32 s46, s43, s43
	v_cmp_ne_u32_e64 s[6:7], 1, v0
	s_branch .LBB9_14
.LBB9_13:                               ;   in Loop: Header=BB9_14 Depth=1
	s_or_b64 exec, exec, s[8:9]
	s_add_i32 s45, s45, 32
	s_cmp_lt_i32 s45, s43
	v_add_u32_e32 v14, s12, v14
	s_cbranch_scc0 .LBB9_58
.LBB9_14:                               ; =>This Loop Header: Depth=1
                                        ;     Child Loop BB9_17 Depth 2
                                        ;       Child Loop BB9_19 Depth 3
	v_add_u32_e32 v18, s45, v13
	v_pk_mov_b32 v[16:17], 0, 0
	s_and_b64 vcc, exec, s[6:7]
	v_cmp_gt_i32_e64 s[8:9], s43, v18
	v_pk_mov_b32 v[20:21], v[16:17], v[16:17] op_sel:[0,1]
	s_cbranch_vccnz .LBB9_47
; %bb.15:                               ;   in Loop: Header=BB9_14 Depth=1
	v_pk_mov_b32 v[16:17], 0, 0
	v_mov_b32_e32 v15, v14
	s_mov_b32 s16, s42
	v_pk_mov_b32 v[20:21], v[16:17], v[16:17] op_sel:[0,1]
	s_branch .LBB9_17
.LBB9_16:                               ;   in Loop: Header=BB9_17 Depth=2
	s_add_i32 s16, s16, 1
	s_cmp_ge_i32 s16, s33
	v_add_u32_e32 v15, s46, v15
	s_cbranch_scc1 .LBB9_47
.LBB9_17:                               ;   Parent Loop BB9_14 Depth=1
                                        ; =>  This Loop Header: Depth=2
                                        ;       Child Loop BB9_19 Depth 3
	s_ashr_i32 s17, s16, 31
	s_lshl_b64 s[34:35], s[16:17], 2
	s_add_u32 s34, s20, s34
	s_addc_u32 s35, s21, s35
	s_load_dword s34, s[34:35], 0x0
	s_mul_i32 s17, s16, s43
	s_mov_b32 s47, 0
	s_waitcnt lgkmcnt(0)
	s_sub_i32 s34, s34, s13
	s_mul_i32 s34, s34, s43
	v_add_u32_e32 v19, s34, v13
	s_branch .LBB9_19
.LBB9_18:                               ;   in Loop: Header=BB9_19 Depth=3
	s_or_b64 exec, exec, s[36:37]
	s_waitcnt vmcnt(0)
	ds_write_b128 v26, v[0:3]
	s_waitcnt lgkmcnt(0)
	s_barrier
	ds_read_b128 v[0:3], v34
	ds_read_b128 v[36:39], v35
	ds_read_b128 v[40:43], v35 offset:16
	ds_read_b128 v[44:47], v35 offset:32
	ds_read_b128 v[48:51], v35 offset:48
	ds_read_b128 v[52:55], v34 offset:512
	s_waitcnt lgkmcnt(4)
	v_fmac_f64_e32 v[20:21], v[0:1], v[36:37]
	v_fmac_f64_e32 v[16:17], v[2:3], v[36:37]
	v_fma_f64 v[20:21], -v[2:3], v[38:39], v[20:21]
	v_fmac_f64_e32 v[16:17], v[0:1], v[38:39]
	ds_read_b128 v[0:3], v34 offset:1024
	s_waitcnt lgkmcnt(1)
	v_fmac_f64_e32 v[20:21], v[52:53], v[40:41]
	v_fma_f64 v[36:37], -v[54:55], v[42:43], v[20:21]
	ds_read_b128 v[20:23], v34 offset:1536
	v_fmac_f64_e32 v[16:17], v[54:55], v[40:41]
	s_waitcnt lgkmcnt(1)
	v_fmac_f64_e32 v[36:37], v[0:1], v[44:45]
	v_fmac_f64_e32 v[16:17], v[52:53], v[42:43]
	v_fma_f64 v[36:37], -v[2:3], v[46:47], v[36:37]
	v_fmac_f64_e32 v[16:17], v[2:3], v[44:45]
	s_waitcnt lgkmcnt(0)
	v_fmac_f64_e32 v[36:37], v[20:21], v[48:49]
	v_fmac_f64_e32 v[16:17], v[0:1], v[46:47]
	v_fma_f64 v[44:45], -v[22:23], v[50:51], v[36:37]
	ds_read_b128 v[0:3], v35 offset:64
	ds_read_b128 v[36:39], v34 offset:2048
	v_fmac_f64_e32 v[16:17], v[22:23], v[48:49]
	v_fmac_f64_e32 v[16:17], v[20:21], v[50:51]
	ds_read_b128 v[20:23], v34 offset:2560
	ds_read_b128 v[40:43], v35 offset:80
	s_add_i32 s47, s47, 32
	s_waitcnt lgkmcnt(2)
	v_fmac_f64_e32 v[44:45], v[36:37], v[0:1]
	v_fmac_f64_e32 v[16:17], v[38:39], v[0:1]
	v_fma_f64 v[44:45], -v[38:39], v[2:3], v[44:45]
	v_fmac_f64_e32 v[16:17], v[36:37], v[2:3]
	ds_read_b128 v[0:3], v35 offset:96
	ds_read_b128 v[36:39], v34 offset:3072
	s_waitcnt lgkmcnt(2)
	v_fmac_f64_e32 v[44:45], v[20:21], v[40:41]
	v_fmac_f64_e32 v[16:17], v[22:23], v[40:41]
	v_fma_f64 v[44:45], -v[22:23], v[42:43], v[44:45]
	v_fmac_f64_e32 v[16:17], v[20:21], v[42:43]
	ds_read_b128 v[20:23], v34 offset:3584
	ds_read_b128 v[40:43], v35 offset:112
	;; [unrolled: 7-line block ×26, first 2 shown]
	s_waitcnt lgkmcnt(2)
	v_fmac_f64_e32 v[48:49], v[36:37], v[0:1]
	v_fmac_f64_e32 v[16:17], v[38:39], v[0:1]
	v_fma_f64 v[20:21], -v[38:39], v[2:3], v[48:49]
	v_fmac_f64_e32 v[16:17], v[36:37], v[2:3]
	s_waitcnt lgkmcnt(0)
	v_fmac_f64_e32 v[20:21], v[40:41], v[44:45]
	v_fmac_f64_e32 v[16:17], v[42:43], v[44:45]
	v_fma_f64 v[20:21], -v[42:43], v[46:47], v[20:21]
	v_fmac_f64_e32 v[16:17], v[40:41], v[46:47]
	s_cmp_ge_i32 s47, s43
	s_barrier
	s_cbranch_scc1 .LBB9_16
.LBB9_19:                               ;   Parent Loop BB9_14 Depth=1
                                        ;     Parent Loop BB9_17 Depth=2
                                        ; =>    This Inner Loop Header: Depth=3
	s_and_b64 vcc, exec, s[14:15]
	s_cbranch_vccz .LBB9_25
; %bb.20:                               ;   in Loop: Header=BB9_19 Depth=3
	s_mov_b64 s[36:37], 0
	s_mov_b64 s[34:35], 0
                                        ; implicit-def: $vgpr22_vgpr23
	s_and_saveexec_b64 s[38:39], s[4:5]
	s_cbranch_execz .LBB9_24
; %bb.21:                               ;   in Loop: Header=BB9_19 Depth=3
	v_add_u32_e32 v0, s47, v13
	v_cmp_gt_i32_e32 vcc, s43, v0
                                        ; implicit-def: $vgpr22_vgpr23
	s_and_saveexec_b64 s[40:41], vcc
	s_xor_b64 s[40:41], exec, s[40:41]
; %bb.22:                               ;   in Loop: Header=BB9_19 Depth=3
	v_add_u32_e32 v0, s47, v19
	v_ashrrev_i32_e32 v1, 31, v0
	v_mul_lo_u32 v2, v1, s26
	v_mul_lo_u32 v3, v0, s27
	v_mad_u64_u32 v[0:1], s[48:49], v0, s26, 0
	v_add3_u32 v1, v1, v3, v2
	v_lshlrev_b64 v[0:1], 4, v[0:1]
	v_add_co_u32_e32 v22, vcc, v24, v0
	s_mov_b64 s[34:35], exec
	v_addc_co_u32_e32 v23, vcc, v25, v1, vcc
; %bb.23:                               ;   in Loop: Header=BB9_19 Depth=3
	s_or_b64 exec, exec, s[40:41]
	s_and_b64 s[34:35], s[34:35], exec
.LBB9_24:                               ;   in Loop: Header=BB9_19 Depth=3
	s_or_b64 exec, exec, s[38:39]
	s_and_b64 vcc, exec, s[36:37]
	s_cbranch_vccnz .LBB9_26
	s_branch .LBB9_31
.LBB9_25:                               ;   in Loop: Header=BB9_19 Depth=3
	s_mov_b64 s[36:37], -1
	s_mov_b64 s[34:35], 0
                                        ; implicit-def: $vgpr22_vgpr23
	s_cbranch_execz .LBB9_31
.LBB9_26:                               ;   in Loop: Header=BB9_19 Depth=3
                                        ; implicit-def: $vgpr22_vgpr23
	s_and_saveexec_b64 s[36:37], s[4:5]
	s_cbranch_execz .LBB9_30
; %bb.27:                               ;   in Loop: Header=BB9_19 Depth=3
	v_add_u32_e32 v0, s47, v13
	v_cmp_gt_i32_e32 vcc, s43, v0
	s_mov_b64 s[40:41], s[34:35]
                                        ; implicit-def: $vgpr22_vgpr23
	s_and_saveexec_b64 s[38:39], vcc
; %bb.28:                               ;   in Loop: Header=BB9_19 Depth=3
	v_add_u32_e32 v0, s47, v19
	v_ashrrev_i32_e32 v1, 31, v0
	v_lshlrev_b64 v[0:1], 4, v[0:1]
	v_add_co_u32_e32 v22, vcc, v28, v0
	v_addc_co_u32_e32 v23, vcc, v29, v1, vcc
	s_or_b64 s[40:41], s[34:35], exec
; %bb.29:                               ;   in Loop: Header=BB9_19 Depth=3
	s_or_b64 exec, exec, s[38:39]
	s_andn2_b64 s[34:35], s[34:35], exec
	s_and_b64 s[38:39], s[40:41], exec
	s_or_b64 s[34:35], s[34:35], s[38:39]
.LBB9_30:                               ;   in Loop: Header=BB9_19 Depth=3
	s_or_b64 exec, exec, s[36:37]
	s_mov_b64 s[36:37], 0
.LBB9_31:                               ;   in Loop: Header=BB9_19 Depth=3
	v_pk_mov_b32 v[0:1], s[36:37], s[36:37] op_sel:[0,1]
	v_pk_mov_b32 v[2:3], s[36:37], s[36:37] op_sel:[0,1]
	s_and_saveexec_b64 s[36:37], s[34:35]
	s_cbranch_execnz .LBB9_39
; %bb.32:                               ;   in Loop: Header=BB9_19 Depth=3
	s_or_b64 exec, exec, s[36:37]
	s_and_b64 vcc, exec, s[10:11]
	ds_write_b128 v27, v[0:3]
	s_cbranch_vccz .LBB9_40
.LBB9_33:                               ;   in Loop: Header=BB9_19 Depth=3
	s_mov_b64 s[36:37], 0
	s_mov_b64 s[34:35], 0
                                        ; implicit-def: $vgpr22
	s_and_saveexec_b64 s[38:39], s[8:9]
	s_cbranch_execz .LBB9_37
; %bb.34:                               ;   in Loop: Header=BB9_19 Depth=3
	v_add_u32_e32 v0, s47, v12
	v_cmp_gt_i32_e32 vcc, s43, v0
                                        ; implicit-def: $vgpr22
	s_and_saveexec_b64 s[40:41], vcc
	s_xor_b64 s[40:41], exec, s[40:41]
; %bb.35:                               ;   in Loop: Header=BB9_19 Depth=3
	v_add_u32_e32 v0, s17, v0
	s_mov_b64 s[34:35], exec
	v_mad_u64_u32 v[22:23], s[48:49], v0, s43, v[18:19]
; %bb.36:                               ;   in Loop: Header=BB9_19 Depth=3
	s_or_b64 exec, exec, s[40:41]
	s_and_b64 s[34:35], s[34:35], exec
.LBB9_37:                               ;   in Loop: Header=BB9_19 Depth=3
	s_or_b64 exec, exec, s[38:39]
	s_and_b64 vcc, exec, s[36:37]
	s_cbranch_vccnz .LBB9_41
.LBB9_38:                               ;   in Loop: Header=BB9_19 Depth=3
	v_pk_mov_b32 v[0:1], s[36:37], s[36:37] op_sel:[0,1]
	v_pk_mov_b32 v[2:3], s[36:37], s[36:37] op_sel:[0,1]
	s_and_saveexec_b64 s[36:37], s[34:35]
	s_cbranch_execz .LBB9_18
	s_branch .LBB9_46
.LBB9_39:                               ;   in Loop: Header=BB9_19 Depth=3
	global_load_dwordx4 v[0:3], v[22:23], off
	s_or_b64 exec, exec, s[36:37]
	s_and_b64 vcc, exec, s[10:11]
	s_waitcnt vmcnt(0)
	ds_write_b128 v27, v[0:3]
	s_cbranch_vccnz .LBB9_33
.LBB9_40:                               ;   in Loop: Header=BB9_19 Depth=3
	s_mov_b64 s[36:37], -1
	s_mov_b64 s[34:35], 0
                                        ; implicit-def: $vgpr22
	s_cbranch_execz .LBB9_38
.LBB9_41:                               ;   in Loop: Header=BB9_19 Depth=3
                                        ; implicit-def: $vgpr22
	s_and_saveexec_b64 s[36:37], s[8:9]
	s_cbranch_execz .LBB9_45
; %bb.42:                               ;   in Loop: Header=BB9_19 Depth=3
	v_add_u32_e32 v0, s47, v12
	v_cmp_gt_i32_e32 vcc, s43, v0
	s_mov_b64 s[38:39], s[34:35]
                                        ; implicit-def: $vgpr22
	s_and_saveexec_b64 s[40:41], vcc
; %bb.43:                               ;   in Loop: Header=BB9_19 Depth=3
	v_add_u32_e32 v22, s47, v15
	s_or_b64 s[38:39], s[34:35], exec
; %bb.44:                               ;   in Loop: Header=BB9_19 Depth=3
	s_or_b64 exec, exec, s[40:41]
	s_andn2_b64 s[34:35], s[34:35], exec
	s_and_b64 s[38:39], s[38:39], exec
	s_or_b64 s[34:35], s[34:35], s[38:39]
.LBB9_45:                               ;   in Loop: Header=BB9_19 Depth=3
	s_or_b64 exec, exec, s[36:37]
	s_mov_b64 s[36:37], 0
	v_pk_mov_b32 v[0:1], s[36:37], s[36:37] op_sel:[0,1]
	v_pk_mov_b32 v[2:3], s[36:37], s[36:37] op_sel:[0,1]
	s_and_saveexec_b64 s[36:37], s[34:35]
	s_cbranch_execz .LBB9_18
.LBB9_46:                               ;   in Loop: Header=BB9_19 Depth=3
	v_ashrrev_i32_e32 v23, 31, v22
	v_lshlrev_b64 v[0:1], 4, v[22:23]
	v_mov_b32_e32 v2, s23
	v_add_co_u32_e32 v0, vcc, s22, v0
	v_addc_co_u32_e32 v1, vcc, v2, v1, vcc
	global_load_dwordx4 v[0:3], v[0:1], off
	s_branch .LBB9_18
.LBB9_47:                               ;   in Loop: Header=BB9_14 Depth=1
	v_cmp_gt_i32_e32 vcc, s43, v18
	s_and_b64 s[16:17], s[24:25], vcc
	s_and_saveexec_b64 s[8:9], s[16:17]
	s_cbranch_execz .LBB9_13
; %bb.48:                               ;   in Loop: Header=BB9_14 Depth=1
	v_add_u32_e32 v18, s44, v18
	v_ashrrev_i32_e32 v19, 31, v18
	s_and_saveexec_b64 s[16:17], s[28:29]
	s_xor_b64 s[16:17], exec, s[16:17]
	s_cbranch_execz .LBB9_53
; %bb.49:                               ;   in Loop: Header=BB9_14 Depth=1
	s_mov_b64 s[34:35], -1
	s_and_b64 vcc, exec, s[30:31]
	s_cbranch_vccz .LBB9_51
; %bb.50:                               ;   in Loop: Header=BB9_14 Depth=1
	v_mul_lo_u32 v2, v19, s18
	v_mul_lo_u32 v3, v18, s19
	v_mad_u64_u32 v[0:1], s[34:35], v18, s18, 0
	v_add3_u32 v1, v1, v3, v2
	v_lshlrev_b64 v[0:1], 4, v[0:1]
	v_add_co_u32_e32 v22, vcc, v30, v0
	v_addc_co_u32_e32 v23, vcc, v31, v1, vcc
	global_load_dwordx4 v[0:3], v[22:23], off
	v_mul_f64 v[36:37], v[16:17], -v[6:7]
	v_mul_f64 v[38:39], v[4:5], v[16:17]
	v_fmac_f64_e32 v[36:37], v[4:5], v[20:21]
	v_fmac_f64_e32 v[38:39], v[6:7], v[20:21]
	s_mov_b64 s[34:35], 0
	s_waitcnt vmcnt(0)
	v_fmac_f64_e32 v[36:37], v[8:9], v[0:1]
	v_fmac_f64_e32 v[38:39], v[10:11], v[0:1]
	v_fma_f64 v[36:37], -v[10:11], v[2:3], v[36:37]
	v_fmac_f64_e32 v[38:39], v[8:9], v[2:3]
	global_store_dwordx4 v[22:23], v[36:39], off
.LBB9_51:                               ;   in Loop: Header=BB9_14 Depth=1
	s_andn2_b64 vcc, exec, s[34:35]
	s_cbranch_vccnz .LBB9_53
; %bb.52:                               ;   in Loop: Header=BB9_14 Depth=1
	v_lshlrev_b64 v[0:1], 4, v[18:19]
	v_add_co_u32_e32 v22, vcc, v32, v0
	v_addc_co_u32_e32 v23, vcc, v33, v1, vcc
	global_load_dwordx4 v[0:3], v[22:23], off
	v_mul_f64 v[36:37], v[16:17], -v[6:7]
	v_mul_f64 v[18:19], v[4:5], v[16:17]
	v_fmac_f64_e32 v[36:37], v[4:5], v[20:21]
	v_fmac_f64_e32 v[18:19], v[6:7], v[20:21]
                                        ; implicit-def: $vgpr20_vgpr21
	s_waitcnt vmcnt(0)
	v_fmac_f64_e32 v[36:37], v[8:9], v[0:1]
	v_fmac_f64_e32 v[18:19], v[10:11], v[0:1]
	v_fma_f64 v[16:17], -v[10:11], v[2:3], v[36:37]
	v_fmac_f64_e32 v[18:19], v[8:9], v[2:3]
	global_store_dwordx4 v[22:23], v[16:19], off
                                        ; implicit-def: $vgpr16_vgpr17
                                        ; implicit-def: $vgpr18
.LBB9_53:                               ;   in Loop: Header=BB9_14 Depth=1
	s_andn2_saveexec_b64 s[16:17], s[16:17]
	s_cbranch_execz .LBB9_13
; %bb.54:                               ;   in Loop: Header=BB9_14 Depth=1
	v_mul_f64 v[0:1], v[16:17], -v[6:7]
	v_mul_f64 v[2:3], v[4:5], v[16:17]
	v_fmac_f64_e32 v[0:1], v[4:5], v[20:21]
	v_fmac_f64_e32 v[2:3], v[6:7], v[20:21]
	s_mov_b64 s[16:17], -1
	s_and_b64 vcc, exec, s[30:31]
	s_cbranch_vccz .LBB9_56
; %bb.55:                               ;   in Loop: Header=BB9_14 Depth=1
	v_mul_lo_u32 v15, v19, s18
	v_mul_lo_u32 v20, v18, s19
	v_mad_u64_u32 v[16:17], s[16:17], v18, s18, 0
	v_add3_u32 v17, v17, v20, v15
	v_lshlrev_b64 v[16:17], 4, v[16:17]
	v_add_co_u32_e32 v16, vcc, v30, v16
	v_addc_co_u32_e32 v17, vcc, v31, v17, vcc
	global_store_dwordx4 v[16:17], v[0:3], off
	s_mov_b64 s[16:17], 0
.LBB9_56:                               ;   in Loop: Header=BB9_14 Depth=1
	s_andn2_b64 vcc, exec, s[16:17]
	s_cbranch_vccnz .LBB9_13
; %bb.57:                               ;   in Loop: Header=BB9_14 Depth=1
	v_lshlrev_b64 v[16:17], 4, v[18:19]
	v_add_co_u32_e32 v16, vcc, v32, v16
	v_addc_co_u32_e32 v17, vcc, v33, v17, vcc
	global_store_dwordx4 v[16:17], v[0:3], off
	s_branch .LBB9_13
.LBB9_58:
	s_endpgm
	.section	.rodata,"a",@progbits
	.p2align	6, 0x0
	.amdhsa_kernel _ZN9rocsparseL29bsrmm_general_blockdim_kernelILj32ELj32Eii21rocsparse_complex_numIdES2_S2_S2_EEvb20rocsparse_direction_T2_S4_llNS_24const_host_device_scalarIT6_EEPKT1_PKS4_PKT3_S4_PKT4_llS7_PT5_ll16rocsparse_order_21rocsparse_index_base_b
		.amdhsa_group_segment_fixed_size 32768
		.amdhsa_private_segment_fixed_size 24
		.amdhsa_kernarg_size 156
		.amdhsa_user_sgpr_count 8
		.amdhsa_user_sgpr_private_segment_buffer 1
		.amdhsa_user_sgpr_dispatch_ptr 0
		.amdhsa_user_sgpr_queue_ptr 0
		.amdhsa_user_sgpr_kernarg_segment_ptr 1
		.amdhsa_user_sgpr_dispatch_id 0
		.amdhsa_user_sgpr_flat_scratch_init 1
		.amdhsa_user_sgpr_kernarg_preload_length 0
		.amdhsa_user_sgpr_kernarg_preload_offset 0
		.amdhsa_user_sgpr_private_segment_size 0
		.amdhsa_uses_dynamic_stack 0
		.amdhsa_system_sgpr_private_segment_wavefront_offset 1
		.amdhsa_system_sgpr_workgroup_id_x 1
		.amdhsa_system_sgpr_workgroup_id_y 1
		.amdhsa_system_sgpr_workgroup_id_z 0
		.amdhsa_system_sgpr_workgroup_info 0
		.amdhsa_system_vgpr_workitem_id 1
		.amdhsa_next_free_vgpr 56
		.amdhsa_next_free_sgpr 50
		.amdhsa_accum_offset 56
		.amdhsa_reserve_vcc 1
		.amdhsa_reserve_flat_scratch 1
		.amdhsa_float_round_mode_32 0
		.amdhsa_float_round_mode_16_64 0
		.amdhsa_float_denorm_mode_32 3
		.amdhsa_float_denorm_mode_16_64 3
		.amdhsa_dx10_clamp 1
		.amdhsa_ieee_mode 1
		.amdhsa_fp16_overflow 0
		.amdhsa_tg_split 0
		.amdhsa_exception_fp_ieee_invalid_op 0
		.amdhsa_exception_fp_denorm_src 0
		.amdhsa_exception_fp_ieee_div_zero 0
		.amdhsa_exception_fp_ieee_overflow 0
		.amdhsa_exception_fp_ieee_underflow 0
		.amdhsa_exception_fp_ieee_inexact 0
		.amdhsa_exception_int_div_zero 0
	.end_amdhsa_kernel
	.section	.text._ZN9rocsparseL29bsrmm_general_blockdim_kernelILj32ELj32Eii21rocsparse_complex_numIdES2_S2_S2_EEvb20rocsparse_direction_T2_S4_llNS_24const_host_device_scalarIT6_EEPKT1_PKS4_PKT3_S4_PKT4_llS7_PT5_ll16rocsparse_order_21rocsparse_index_base_b,"axG",@progbits,_ZN9rocsparseL29bsrmm_general_blockdim_kernelILj32ELj32Eii21rocsparse_complex_numIdES2_S2_S2_EEvb20rocsparse_direction_T2_S4_llNS_24const_host_device_scalarIT6_EEPKT1_PKS4_PKT3_S4_PKT4_llS7_PT5_ll16rocsparse_order_21rocsparse_index_base_b,comdat
.Lfunc_end9:
	.size	_ZN9rocsparseL29bsrmm_general_blockdim_kernelILj32ELj32Eii21rocsparse_complex_numIdES2_S2_S2_EEvb20rocsparse_direction_T2_S4_llNS_24const_host_device_scalarIT6_EEPKT1_PKS4_PKT3_S4_PKT4_llS7_PT5_ll16rocsparse_order_21rocsparse_index_base_b, .Lfunc_end9-_ZN9rocsparseL29bsrmm_general_blockdim_kernelILj32ELj32Eii21rocsparse_complex_numIdES2_S2_S2_EEvb20rocsparse_direction_T2_S4_llNS_24const_host_device_scalarIT6_EEPKT1_PKS4_PKT3_S4_PKT4_llS7_PT5_ll16rocsparse_order_21rocsparse_index_base_b
                                        ; -- End function
	.section	.AMDGPU.csdata,"",@progbits
; Kernel info:
; codeLenInByte = 3188
; NumSgprs: 56
; NumVgprs: 56
; NumAgprs: 0
; TotalNumVgprs: 56
; ScratchSize: 24
; MemoryBound: 1
; FloatMode: 240
; IeeeMode: 1
; LDSByteSize: 32768 bytes/workgroup (compile time only)
; SGPRBlocks: 6
; VGPRBlocks: 6
; NumSGPRsForWavesPerEU: 56
; NumVGPRsForWavesPerEU: 56
; AccumOffset: 56
; Occupancy: 8
; WaveLimiterHint : 1
; COMPUTE_PGM_RSRC2:SCRATCH_EN: 1
; COMPUTE_PGM_RSRC2:USER_SGPR: 8
; COMPUTE_PGM_RSRC2:TRAP_HANDLER: 0
; COMPUTE_PGM_RSRC2:TGID_X_EN: 1
; COMPUTE_PGM_RSRC2:TGID_Y_EN: 1
; COMPUTE_PGM_RSRC2:TGID_Z_EN: 0
; COMPUTE_PGM_RSRC2:TIDIG_COMP_CNT: 1
; COMPUTE_PGM_RSRC3_GFX90A:ACCUM_OFFSET: 13
; COMPUTE_PGM_RSRC3_GFX90A:TG_SPLIT: 0
	.section	.text._ZN9rocsparseL29bsrmm_general_blockdim_kernelILj32ELj32Eli21rocsparse_complex_numIdES2_S2_S2_EEvb20rocsparse_direction_T2_S4_llNS_24const_host_device_scalarIT6_EEPKT1_PKS4_PKT3_S4_PKT4_llS7_PT5_ll16rocsparse_order_21rocsparse_index_base_b,"axG",@progbits,_ZN9rocsparseL29bsrmm_general_blockdim_kernelILj32ELj32Eli21rocsparse_complex_numIdES2_S2_S2_EEvb20rocsparse_direction_T2_S4_llNS_24const_host_device_scalarIT6_EEPKT1_PKS4_PKT3_S4_PKT4_llS7_PT5_ll16rocsparse_order_21rocsparse_index_base_b,comdat
	.globl	_ZN9rocsparseL29bsrmm_general_blockdim_kernelILj32ELj32Eli21rocsparse_complex_numIdES2_S2_S2_EEvb20rocsparse_direction_T2_S4_llNS_24const_host_device_scalarIT6_EEPKT1_PKS4_PKT3_S4_PKT4_llS7_PT5_ll16rocsparse_order_21rocsparse_index_base_b ; -- Begin function _ZN9rocsparseL29bsrmm_general_blockdim_kernelILj32ELj32Eli21rocsparse_complex_numIdES2_S2_S2_EEvb20rocsparse_direction_T2_S4_llNS_24const_host_device_scalarIT6_EEPKT1_PKS4_PKT3_S4_PKT4_llS7_PT5_ll16rocsparse_order_21rocsparse_index_base_b
	.p2align	8
	.type	_ZN9rocsparseL29bsrmm_general_blockdim_kernelILj32ELj32Eli21rocsparse_complex_numIdES2_S2_S2_EEvb20rocsparse_direction_T2_S4_llNS_24const_host_device_scalarIT6_EEPKT1_PKS4_PKT3_S4_PKT4_llS7_PT5_ll16rocsparse_order_21rocsparse_index_base_b,@function
_ZN9rocsparseL29bsrmm_general_blockdim_kernelILj32ELj32Eli21rocsparse_complex_numIdES2_S2_S2_EEvb20rocsparse_direction_T2_S4_llNS_24const_host_device_scalarIT6_EEPKT1_PKS4_PKT3_S4_PKT4_llS7_PT5_ll16rocsparse_order_21rocsparse_index_base_b: ; @_ZN9rocsparseL29bsrmm_general_blockdim_kernelILj32ELj32Eli21rocsparse_complex_numIdES2_S2_S2_EEvb20rocsparse_direction_T2_S4_llNS_24const_host_device_scalarIT6_EEPKT1_PKS4_PKT3_S4_PKT4_llS7_PT5_ll16rocsparse_order_21rocsparse_index_base_b
; %bb.0:
	s_add_u32 flat_scratch_lo, s6, s10
	s_load_dwordx4 s[12:15], s[4:5], 0x90
	s_load_dwordx4 s[20:23], s[4:5], 0x20
	s_addc_u32 flat_scratch_hi, s7, 0
	s_add_u32 s0, s0, s10
	s_load_dwordx4 s[16:19], s[4:5], 0x68
	s_addc_u32 s1, s1, 0
	s_waitcnt lgkmcnt(0)
	s_bitcmp1_b32 s14, 0
	v_mov_b32_e32 v1, 0
	v_mov_b32_e32 v3, s20
	s_cselect_b64 s[6:7], -1, 0
	v_cndmask_b32_e64 v2, v3, v1, s[6:7]
	v_mov_b32_e32 v1, s21
	s_mov_b64 s[14:15], src_private_base
	s_and_b64 vcc, s[6:7], exec
	buffer_store_dword v1, off, s[0:3], 0 offset:4
	buffer_store_dword v3, off, s[0:3], 0
	v_mov_b32_e32 v1, s17
	s_mov_b32 s10, s9
	s_cselect_b32 s9, s15, s21
	buffer_store_dword v1, off, s[0:3], 0 offset:12
	v_mov_b32_e32 v1, s16
	buffer_store_dword v1, off, s[0:3], 0 offset:8
	v_mov_b32_e32 v3, s9
	flat_load_dwordx2 v[4:5], v[2:3]
	s_xor_b64 s[24:25], s[6:7], -1
	v_pk_mov_b32 v[6:7], s[22:23], s[22:23] op_sel:[0,1]
	s_cbranch_vccnz .LBB10_2
; %bb.1:
	v_pk_mov_b32 v[2:3], s[20:21], s[20:21] op_sel:[0,1]
	flat_load_dwordx2 v[6:7], v[2:3] offset:8
.LBB10_2:
	s_and_b64 s[20:21], s[6:7], exec
	s_cselect_b32 s9, s15, s17
	v_mov_b32_e32 v1, 8
	v_mov_b32_e32 v2, s16
	v_cndmask_b32_e64 v2, v2, v1, s[6:7]
	v_mov_b32_e32 v3, s9
	flat_load_dwordx2 v[8:9], v[2:3]
	s_andn2_b64 vcc, exec, s[24:25]
	v_pk_mov_b32 v[10:11], s[18:19], s[18:19] op_sel:[0,1]
	s_cbranch_vccnz .LBB10_4
; %bb.3:
	v_pk_mov_b32 v[2:3], s[16:17], s[16:17] op_sel:[0,1]
	flat_load_dwordx2 v[10:11], v[2:3] offset:8
.LBB10_4:
	s_waitcnt vmcnt(0) lgkmcnt(0)
	v_cmp_eq_f64_e32 vcc, 0, v[4:5]
	v_cmp_eq_f64_e64 s[6:7], 0, v[6:7]
	s_and_b64 s[16:17], vcc, s[6:7]
	s_mov_b64 s[6:7], -1
	s_and_saveexec_b64 s[14:15], s[16:17]
; %bb.5:
	v_cmp_neq_f64_e32 vcc, 1.0, v[8:9]
	v_cmp_neq_f64_e64 s[6:7], 0, v[10:11]
	s_or_b64 s[6:7], vcc, s[6:7]
	s_orn2_b64 s[6:7], s[6:7], exec
; %bb.6:
	s_or_b64 exec, exec, s[14:15]
	s_and_saveexec_b64 s[14:15], s[6:7]
	s_cbranch_execz .LBB10_54
; %bb.7:
	s_load_dwordx4 s[28:31], s[4:5], 0x0
	s_load_dwordx2 s[16:17], s[4:5], 0x30
	s_mov_b64 s[14:15], 0
	s_mov_b64 s[34:35], 0
	s_waitcnt lgkmcnt(0)
	s_cmp_lt_i32 s8, s30
	s_cselect_b64 s[6:7], -1, 0
	s_cmp_ge_i32 s8, s30
	s_cbranch_scc0 .LBB10_10
; %bb.8:
	s_andn2_b64 vcc, exec, s[6:7]
	s_cbranch_vccz .LBB10_11
.LBB10_9:
	s_load_dword s33, s[4:5], 0x48
	s_waitcnt lgkmcnt(0)
	s_cmp_lt_i32 s33, 1
	s_cbranch_scc0 .LBB10_12
	s_branch .LBB10_54
.LBB10_10:
	s_ashr_i32 s9, s8, 31
	s_lshl_b64 s[18:19], s[8:9], 3
	s_add_u32 s18, s16, s18
	s_addc_u32 s19, s17, s19
	s_load_dwordx2 s[18:19], s[18:19], 0x0
	s_waitcnt lgkmcnt(0)
	s_sub_u32 s34, s18, s13
	s_subb_u32 s35, s19, 0
	s_andn2_b64 vcc, exec, s[6:7]
	s_cbranch_vccnz .LBB10_9
.LBB10_11:
	s_ashr_i32 s9, s8, 31
	s_lshl_b64 s[14:15], s[8:9], 3
	s_add_u32 s14, s16, s14
	s_addc_u32 s15, s17, s15
	s_load_dwordx2 s[14:15], s[14:15], 0x8
	s_waitcnt lgkmcnt(0)
	s_sub_u32 s14, s14, s13
	s_subb_u32 s15, s15, 0
	s_load_dword s33, s[4:5], 0x48
	s_waitcnt lgkmcnt(0)
	s_cmp_lt_i32 s33, 1
	s_cbranch_scc1 .LBB10_54
.LBB10_12:
	s_load_dwordx4 s[16:19], s[4:5], 0x78
	s_load_dwordx4 s[20:23], s[4:5], 0x38
	;; [unrolled: 1-line block ×3, first 2 shown]
	v_bfe_u32 v21, v0, 10, 10
	v_and_b32_e32 v20, 0x3ff, v0
	v_lshl_add_u32 v0, s10, 5, v21
	v_ashrrev_i32_e32 v1, 31, v0
	v_lshlrev_b32_e32 v14, 5, v21
	s_mul_i32 s46, s8, s33
	v_lshlrev_b64 v[12:13], 4, v[0:1]
	v_add_lshl_u32 v24, v14, v20, 4
	s_waitcnt lgkmcnt(0)
	v_mul_lo_u32 v17, v1, s26
	v_mul_lo_u32 v18, v0, s27
	v_mad_u64_u32 v[14:15], s[8:9], v0, s26, 0
	s_bitcmp1_b32 s28, 0
	v_mov_b32_e32 v16, s25
	v_add_co_u32_e32 v22, vcc, s24, v12
	v_add3_u32 v15, v15, v18, v17
	s_cselect_b64 s[4:5], -1, 0
	v_addc_co_u32_e32 v23, vcc, v16, v13, vcc
	v_lshlrev_b64 v[14:15], 4, v[14:15]
	s_xor_b64 s[36:37], s[4:5], -1
	v_add_co_u32_e32 v26, vcc, s24, v14
	v_cmp_gt_i32_e64 s[4:5], s31, v0
	v_addc_co_u32_e32 v27, vcc, v16, v15, vcc
	s_cmp_lg_u32 s29, 0
	s_cselect_b64 s[10:11], -1, 0
	s_and_b64 s[24:25], s[6:7], s[4:5]
	v_cmp_neq_f64_e32 vcc, 0, v[8:9]
	v_cmp_neq_f64_e64 s[6:7], 0, v[10:11]
	s_or_b64 s[28:29], vcc, s[6:7]
	v_mov_b32_e32 v14, s17
	v_add_co_u32_e32 v28, vcc, s16, v12
	v_addc_co_u32_e32 v29, vcc, v14, v13, vcc
	v_mul_lo_u32 v12, v1, s18
	v_mul_lo_u32 v13, v0, s19
	v_mad_u64_u32 v[0:1], s[6:7], v0, s18, 0
	v_add3_u32 v1, v1, v13, v12
	v_lshlrev_b64 v[0:1], 4, v[0:1]
	v_add_co_u32_e32 v30, vcc, s16, v0
	v_pk_mov_b32 v[2:3], s[14:15], s[14:15] op_sel:[0,1]
	v_addc_co_u32_e32 v31, vcc, v14, v1, vcc
	v_mov_b32_e32 v0, 0x4000
	v_cmp_lt_i64_e32 vcc, s[34:35], v[2:3]
	s_cmp_lg_u32 s12, 1
	v_lshl_add_u32 v33, v21, 9, v0
	v_cndmask_b32_e64 v0, 0, 1, vcc
	v_add_u32_e32 v25, 0x4000, v24
	s_mov_b32 s47, 0
	s_mul_i32 s48, s33, s33
	s_cselect_b64 s[30:31], -1, 0
	v_lshlrev_b32_e32 v32, 4, v20
	v_cmp_ne_u32_e64 s[6:7], 1, v0
	s_branch .LBB10_14
.LBB10_13:                              ;   in Loop: Header=BB10_14 Depth=1
	s_or_b64 exec, exec, s[8:9]
	s_add_i32 s47, s47, 32
	s_cmp_lt_i32 s47, s33
	s_cbranch_scc0 .LBB10_54
.LBB10_14:                              ; =>This Loop Header: Depth=1
                                        ;     Child Loop BB10_17 Depth 2
                                        ;       Child Loop BB10_19 Depth 3
	v_add_u32_e32 v34, s47, v20
	v_pk_mov_b32 v[12:13], 0, 0
	s_and_b64 vcc, exec, s[6:7]
	v_cmp_gt_i32_e64 s[8:9], s33, v34
	v_pk_mov_b32 v[14:15], v[12:13], v[12:13] op_sel:[0,1]
	s_cbranch_vccnz .LBB10_43
; %bb.15:                               ;   in Loop: Header=BB10_14 Depth=1
	v_pk_mov_b32 v[12:13], 0, 0
	v_mul_lo_u32 v35, v34, s33
	s_mov_b64 s[16:17], s[34:35]
	v_pk_mov_b32 v[14:15], v[12:13], v[12:13] op_sel:[0,1]
	s_branch .LBB10_17
.LBB10_16:                              ;   in Loop: Header=BB10_17 Depth=2
	s_add_u32 s16, s16, 1
	s_addc_u32 s17, s17, 0
	v_pk_mov_b32 v[0:1], s[14:15], s[14:15] op_sel:[0,1]
	v_cmp_ge_i64_e32 vcc, s[16:17], v[0:1]
	s_cbranch_vccnz .LBB10_43
.LBB10_17:                              ;   Parent Loop BB10_14 Depth=1
                                        ; =>  This Loop Header: Depth=2
                                        ;       Child Loop BB10_19 Depth 3
	s_lshl_b64 s[38:39], s[16:17], 2
	s_add_u32 s38, s20, s38
	s_addc_u32 s39, s21, s39
	s_load_dword s12, s[38:39], 0x0
	s_mul_i32 s39, s17, s48
	s_mul_hi_u32 s40, s16, s48
	s_mul_i32 s38, s16, s48
	s_add_i32 s39, s40, s39
	s_waitcnt lgkmcnt(0)
	s_sub_i32 s12, s12, s13
	s_lshl_b64 s[38:39], s[38:39], 4
	s_mul_i32 s40, s12, s33
	s_add_u32 s12, s22, s38
	s_addc_u32 s49, s23, s39
	v_add_u32_e32 v36, s40, v20
	s_mov_b32 s50, 0
	s_branch .LBB10_19
.LBB10_18:                              ;   in Loop: Header=BB10_19 Depth=3
	s_or_b64 exec, exec, s[38:39]
	s_waitcnt vmcnt(0)
	ds_write_b128 v24, v[0:3]
	s_waitcnt lgkmcnt(0)
	s_barrier
	ds_read_b128 v[0:3], v32
	ds_read_b128 v[16:19], v33
	ds_read_b128 v[38:41], v33 offset:16
	ds_read_b128 v[42:45], v33 offset:32
	;; [unrolled: 1-line block ×4, first 2 shown]
	s_waitcnt lgkmcnt(4)
	v_fmac_f64_e32 v[14:15], v[0:1], v[16:17]
	v_fmac_f64_e32 v[12:13], v[2:3], v[16:17]
	v_fma_f64 v[14:15], -v[2:3], v[18:19], v[14:15]
	v_fmac_f64_e32 v[12:13], v[0:1], v[18:19]
	ds_read_b128 v[0:3], v32 offset:1024
	s_waitcnt lgkmcnt(1)
	v_fmac_f64_e32 v[14:15], v[50:51], v[38:39]
	v_fma_f64 v[18:19], -v[52:53], v[40:41], v[14:15]
	ds_read_b128 v[14:17], v32 offset:1536
	v_fmac_f64_e32 v[12:13], v[52:53], v[38:39]
	v_fmac_f64_e32 v[12:13], v[50:51], v[40:41]
	s_waitcnt lgkmcnt(1)
	v_fmac_f64_e32 v[18:19], v[0:1], v[42:43]
	v_fmac_f64_e32 v[12:13], v[2:3], v[42:43]
	v_fma_f64 v[18:19], -v[2:3], v[44:45], v[18:19]
	v_fmac_f64_e32 v[12:13], v[0:1], v[44:45]
	ds_read_b128 v[0:3], v33 offset:64
	ds_read_b128 v[38:41], v32 offset:2048
	s_waitcnt lgkmcnt(2)
	v_fmac_f64_e32 v[18:19], v[14:15], v[46:47]
	v_fmac_f64_e32 v[12:13], v[16:17], v[46:47]
	v_fma_f64 v[18:19], -v[16:17], v[48:49], v[18:19]
	v_fmac_f64_e32 v[12:13], v[14:15], v[48:49]
	ds_read_b128 v[14:17], v32 offset:2560
	ds_read_b128 v[42:45], v33 offset:80
	;; [unrolled: 7-line block ×28, first 2 shown]
	s_waitcnt lgkmcnt(2)
	v_fmac_f64_e32 v[46:47], v[38:39], v[0:1]
	v_fmac_f64_e32 v[12:13], v[40:41], v[0:1]
	v_fma_f64 v[14:15], -v[40:41], v[2:3], v[46:47]
	v_fmac_f64_e32 v[12:13], v[38:39], v[2:3]
	s_waitcnt lgkmcnt(0)
	v_fmac_f64_e32 v[14:15], v[16:17], v[42:43]
	v_fmac_f64_e32 v[12:13], v[18:19], v[42:43]
	s_add_i32 s50, s50, 32
	v_fma_f64 v[14:15], -v[18:19], v[44:45], v[14:15]
	v_fmac_f64_e32 v[12:13], v[16:17], v[44:45]
	s_cmp_ge_i32 s50, s33
	s_barrier
	s_cbranch_scc1 .LBB10_16
.LBB10_19:                              ;   Parent Loop BB10_14 Depth=1
                                        ;     Parent Loop BB10_17 Depth=2
                                        ; =>    This Inner Loop Header: Depth=3
	s_and_b64 vcc, exec, s[36:37]
	s_cbranch_vccz .LBB10_25
; %bb.20:                               ;   in Loop: Header=BB10_19 Depth=3
	s_mov_b64 s[40:41], 0
	s_mov_b64 s[38:39], 0
                                        ; implicit-def: $vgpr16_vgpr17
	s_and_saveexec_b64 s[42:43], s[4:5]
	s_cbranch_execz .LBB10_24
; %bb.21:                               ;   in Loop: Header=BB10_19 Depth=3
	v_add_u32_e32 v0, s50, v20
	v_cmp_gt_i32_e32 vcc, s33, v0
                                        ; implicit-def: $vgpr16_vgpr17
	s_and_saveexec_b64 s[44:45], vcc
	s_xor_b64 s[44:45], exec, s[44:45]
; %bb.22:                               ;   in Loop: Header=BB10_19 Depth=3
	v_add_u32_e32 v0, s50, v36
	v_ashrrev_i32_e32 v1, 31, v0
	v_mul_lo_u32 v2, v1, s26
	v_mul_lo_u32 v3, v0, s27
	v_mad_u64_u32 v[0:1], s[52:53], v0, s26, 0
	v_add3_u32 v1, v1, v3, v2
	v_lshlrev_b64 v[0:1], 4, v[0:1]
	v_add_co_u32_e32 v16, vcc, v22, v0
	s_mov_b64 s[38:39], exec
	v_addc_co_u32_e32 v17, vcc, v23, v1, vcc
; %bb.23:                               ;   in Loop: Header=BB10_19 Depth=3
	s_or_b64 exec, exec, s[44:45]
	s_and_b64 s[38:39], s[38:39], exec
.LBB10_24:                              ;   in Loop: Header=BB10_19 Depth=3
	s_or_b64 exec, exec, s[42:43]
	s_and_b64 vcc, exec, s[40:41]
	s_cbranch_vccnz .LBB10_26
	s_branch .LBB10_31
.LBB10_25:                              ;   in Loop: Header=BB10_19 Depth=3
	s_mov_b64 s[40:41], -1
	s_mov_b64 s[38:39], 0
                                        ; implicit-def: $vgpr16_vgpr17
	s_cbranch_execz .LBB10_31
.LBB10_26:                              ;   in Loop: Header=BB10_19 Depth=3
                                        ; implicit-def: $vgpr16_vgpr17
	s_and_saveexec_b64 s[40:41], s[4:5]
	s_cbranch_execz .LBB10_30
; %bb.27:                               ;   in Loop: Header=BB10_19 Depth=3
	v_add_u32_e32 v0, s50, v20
	v_cmp_gt_i32_e32 vcc, s33, v0
	s_mov_b64 s[44:45], s[38:39]
                                        ; implicit-def: $vgpr16_vgpr17
	s_and_saveexec_b64 s[42:43], vcc
; %bb.28:                               ;   in Loop: Header=BB10_19 Depth=3
	v_add_u32_e32 v0, s50, v36
	v_ashrrev_i32_e32 v1, 31, v0
	v_lshlrev_b64 v[0:1], 4, v[0:1]
	v_add_co_u32_e32 v16, vcc, v26, v0
	v_addc_co_u32_e32 v17, vcc, v27, v1, vcc
	s_or_b64 s[44:45], s[38:39], exec
; %bb.29:                               ;   in Loop: Header=BB10_19 Depth=3
	s_or_b64 exec, exec, s[42:43]
	s_andn2_b64 s[38:39], s[38:39], exec
	s_and_b64 s[42:43], s[44:45], exec
	s_or_b64 s[38:39], s[38:39], s[42:43]
.LBB10_30:                              ;   in Loop: Header=BB10_19 Depth=3
	s_or_b64 exec, exec, s[40:41]
	s_mov_b64 s[40:41], 0
.LBB10_31:                              ;   in Loop: Header=BB10_19 Depth=3
	v_pk_mov_b32 v[0:1], s[40:41], s[40:41] op_sel:[0,1]
	v_pk_mov_b32 v[2:3], s[40:41], s[40:41] op_sel:[0,1]
	s_and_saveexec_b64 s[40:41], s[38:39]
	s_cbranch_execnz .LBB10_41
; %bb.32:                               ;   in Loop: Header=BB10_19 Depth=3
	s_or_b64 exec, exec, s[40:41]
	s_and_b64 vcc, exec, s[10:11]
	ds_write_b128 v25, v[0:3]
	s_cbranch_vccz .LBB10_42
.LBB10_33:                              ;   in Loop: Header=BB10_19 Depth=3
	s_mov_b64 s[38:39], 0
	s_mov_b64 s[40:41], 0
                                        ; implicit-def: $vgpr16
	s_and_saveexec_b64 s[42:43], s[8:9]
	s_cbranch_execz .LBB10_37
; %bb.34:                               ;   in Loop: Header=BB10_19 Depth=3
	v_add_u32_e32 v0, s50, v21
	v_cmp_gt_i32_e32 vcc, s33, v0
                                        ; implicit-def: $vgpr16
	s_and_saveexec_b64 s[44:45], vcc
	s_xor_b64 s[44:45], exec, s[44:45]
; %bb.35:                               ;   in Loop: Header=BB10_19 Depth=3
	s_mov_b64 s[40:41], exec
	v_mul_lo_u32 v16, v0, s33
; %bb.36:                               ;   in Loop: Header=BB10_19 Depth=3
	s_or_b64 exec, exec, s[44:45]
	s_and_b64 s[40:41], s[40:41], exec
.LBB10_37:                              ;   in Loop: Header=BB10_19 Depth=3
	s_or_b64 exec, exec, s[42:43]
	v_mov_b32_e32 v18, v34
	s_and_b64 vcc, exec, s[38:39]
	s_cbranch_vccz .LBB10_39
.LBB10_38:                              ;   in Loop: Header=BB10_19 Depth=3
	v_add_u32_e32 v16, s50, v21
	v_cmp_gt_i32_e32 vcc, s33, v16
	s_and_b64 s[42:43], s[8:9], vcc
	s_andn2_b64 s[40:41], s[40:41], exec
	s_and_b64 s[42:43], s[42:43], exec
	s_mov_b64 s[38:39], 0
	s_or_b64 s[40:41], s[40:41], s[42:43]
	v_mov_b32_e32 v18, v35
.LBB10_39:                              ;   in Loop: Header=BB10_19 Depth=3
	v_pk_mov_b32 v[0:1], s[38:39], s[38:39] op_sel:[0,1]
	v_pk_mov_b32 v[2:3], s[38:39], s[38:39] op_sel:[0,1]
	s_and_saveexec_b64 s[38:39], s[40:41]
	s_cbranch_execz .LBB10_18
; %bb.40:                               ;   in Loop: Header=BB10_19 Depth=3
	v_ashrrev_i32_e32 v19, 31, v18
	v_lshlrev_b64 v[0:1], 4, v[18:19]
	v_mov_b32_e32 v2, s49
	v_add_co_u32_e32 v3, vcc, s12, v0
	v_ashrrev_i32_e32 v17, 31, v16
	v_addc_co_u32_e32 v2, vcc, v2, v1, vcc
	v_lshlrev_b64 v[0:1], 4, v[16:17]
	v_add_co_u32_e32 v0, vcc, v3, v0
	v_addc_co_u32_e32 v1, vcc, v2, v1, vcc
	global_load_dwordx4 v[0:3], v[0:1], off
	s_branch .LBB10_18
.LBB10_41:                              ;   in Loop: Header=BB10_19 Depth=3
	global_load_dwordx4 v[0:3], v[16:17], off
	s_or_b64 exec, exec, s[40:41]
	s_and_b64 vcc, exec, s[10:11]
	s_waitcnt vmcnt(0)
	ds_write_b128 v25, v[0:3]
	s_cbranch_vccnz .LBB10_33
.LBB10_42:                              ;   in Loop: Header=BB10_19 Depth=3
	s_mov_b64 s[38:39], -1
	s_mov_b64 s[40:41], 0
                                        ; implicit-def: $vgpr18
                                        ; implicit-def: $vgpr16
	s_cbranch_execnz .LBB10_38
	s_branch .LBB10_39
.LBB10_43:                              ;   in Loop: Header=BB10_14 Depth=1
	v_cmp_gt_i32_e32 vcc, s33, v34
	s_and_b64 s[16:17], s[24:25], vcc
	s_and_saveexec_b64 s[8:9], s[16:17]
	s_cbranch_execz .LBB10_13
; %bb.44:                               ;   in Loop: Header=BB10_14 Depth=1
	v_add_u32_e32 v16, s46, v34
	v_ashrrev_i32_e32 v17, 31, v16
	s_and_saveexec_b64 s[16:17], s[28:29]
	s_xor_b64 s[16:17], exec, s[16:17]
	s_cbranch_execz .LBB10_49
; %bb.45:                               ;   in Loop: Header=BB10_14 Depth=1
	s_mov_b64 s[38:39], -1
	s_and_b64 vcc, exec, s[30:31]
	s_cbranch_vccz .LBB10_47
; %bb.46:                               ;   in Loop: Header=BB10_14 Depth=1
	v_mul_lo_u32 v2, v17, s18
	v_mul_lo_u32 v3, v16, s19
	v_mad_u64_u32 v[0:1], s[38:39], v16, s18, 0
	v_add3_u32 v1, v1, v3, v2
	v_lshlrev_b64 v[0:1], 4, v[0:1]
	v_add_co_u32_e32 v18, vcc, v28, v0
	v_addc_co_u32_e32 v19, vcc, v29, v1, vcc
	global_load_dwordx4 v[0:3], v[18:19], off
	v_mul_f64 v[34:35], v[12:13], -v[6:7]
	v_mul_f64 v[36:37], v[4:5], v[12:13]
	v_fmac_f64_e32 v[34:35], v[4:5], v[14:15]
	v_fmac_f64_e32 v[36:37], v[6:7], v[14:15]
	s_mov_b64 s[38:39], 0
	s_waitcnt vmcnt(0)
	v_fmac_f64_e32 v[34:35], v[8:9], v[0:1]
	v_fmac_f64_e32 v[36:37], v[10:11], v[0:1]
	v_fma_f64 v[34:35], -v[10:11], v[2:3], v[34:35]
	v_fmac_f64_e32 v[36:37], v[8:9], v[2:3]
	global_store_dwordx4 v[18:19], v[34:37], off
.LBB10_47:                              ;   in Loop: Header=BB10_14 Depth=1
	s_andn2_b64 vcc, exec, s[38:39]
	s_cbranch_vccnz .LBB10_49
; %bb.48:                               ;   in Loop: Header=BB10_14 Depth=1
	v_lshlrev_b64 v[0:1], 4, v[16:17]
	v_add_co_u32_e32 v18, vcc, v30, v0
	v_addc_co_u32_e32 v19, vcc, v31, v1, vcc
	global_load_dwordx4 v[0:3], v[18:19], off
	v_mul_f64 v[34:35], v[12:13], -v[6:7]
	v_mul_f64 v[16:17], v[4:5], v[12:13]
	v_fmac_f64_e32 v[34:35], v[4:5], v[14:15]
	v_fmac_f64_e32 v[16:17], v[6:7], v[14:15]
                                        ; implicit-def: $vgpr12_vgpr13
	s_waitcnt vmcnt(0)
	v_fmac_f64_e32 v[34:35], v[8:9], v[0:1]
	v_fmac_f64_e32 v[16:17], v[10:11], v[0:1]
	v_fma_f64 v[14:15], -v[10:11], v[2:3], v[34:35]
	v_fmac_f64_e32 v[16:17], v[8:9], v[2:3]
	global_store_dwordx4 v[18:19], v[14:17], off
                                        ; implicit-def: $vgpr14_vgpr15
                                        ; implicit-def: $vgpr16
.LBB10_49:                              ;   in Loop: Header=BB10_14 Depth=1
	s_andn2_saveexec_b64 s[16:17], s[16:17]
	s_cbranch_execz .LBB10_13
; %bb.50:                               ;   in Loop: Header=BB10_14 Depth=1
	v_mul_f64 v[0:1], v[12:13], -v[6:7]
	v_mul_f64 v[2:3], v[4:5], v[12:13]
	v_fmac_f64_e32 v[0:1], v[4:5], v[14:15]
	v_fmac_f64_e32 v[2:3], v[6:7], v[14:15]
	s_mov_b64 s[16:17], -1
	s_and_b64 vcc, exec, s[30:31]
	s_cbranch_vccz .LBB10_52
; %bb.51:                               ;   in Loop: Header=BB10_14 Depth=1
	v_mul_lo_u32 v14, v17, s18
	v_mul_lo_u32 v15, v16, s19
	v_mad_u64_u32 v[12:13], s[16:17], v16, s18, 0
	v_add3_u32 v13, v13, v15, v14
	v_lshlrev_b64 v[12:13], 4, v[12:13]
	v_add_co_u32_e32 v12, vcc, v28, v12
	v_addc_co_u32_e32 v13, vcc, v29, v13, vcc
	global_store_dwordx4 v[12:13], v[0:3], off
	s_mov_b64 s[16:17], 0
.LBB10_52:                              ;   in Loop: Header=BB10_14 Depth=1
	s_andn2_b64 vcc, exec, s[16:17]
	s_cbranch_vccnz .LBB10_13
; %bb.53:                               ;   in Loop: Header=BB10_14 Depth=1
	v_lshlrev_b64 v[12:13], 4, v[16:17]
	v_add_co_u32_e32 v12, vcc, v30, v12
	v_addc_co_u32_e32 v13, vcc, v31, v13, vcc
	global_store_dwordx4 v[12:13], v[0:3], off
	s_branch .LBB10_13
.LBB10_54:
	s_endpgm
	.section	.rodata,"a",@progbits
	.p2align	6, 0x0
	.amdhsa_kernel _ZN9rocsparseL29bsrmm_general_blockdim_kernelILj32ELj32Eli21rocsparse_complex_numIdES2_S2_S2_EEvb20rocsparse_direction_T2_S4_llNS_24const_host_device_scalarIT6_EEPKT1_PKS4_PKT3_S4_PKT4_llS7_PT5_ll16rocsparse_order_21rocsparse_index_base_b
		.amdhsa_group_segment_fixed_size 32768
		.amdhsa_private_segment_fixed_size 24
		.amdhsa_kernarg_size 156
		.amdhsa_user_sgpr_count 8
		.amdhsa_user_sgpr_private_segment_buffer 1
		.amdhsa_user_sgpr_dispatch_ptr 0
		.amdhsa_user_sgpr_queue_ptr 0
		.amdhsa_user_sgpr_kernarg_segment_ptr 1
		.amdhsa_user_sgpr_dispatch_id 0
		.amdhsa_user_sgpr_flat_scratch_init 1
		.amdhsa_user_sgpr_kernarg_preload_length 0
		.amdhsa_user_sgpr_kernarg_preload_offset 0
		.amdhsa_user_sgpr_private_segment_size 0
		.amdhsa_uses_dynamic_stack 0
		.amdhsa_system_sgpr_private_segment_wavefront_offset 1
		.amdhsa_system_sgpr_workgroup_id_x 1
		.amdhsa_system_sgpr_workgroup_id_y 1
		.amdhsa_system_sgpr_workgroup_id_z 0
		.amdhsa_system_sgpr_workgroup_info 0
		.amdhsa_system_vgpr_workitem_id 1
		.amdhsa_next_free_vgpr 54
		.amdhsa_next_free_sgpr 54
		.amdhsa_accum_offset 56
		.amdhsa_reserve_vcc 1
		.amdhsa_reserve_flat_scratch 1
		.amdhsa_float_round_mode_32 0
		.amdhsa_float_round_mode_16_64 0
		.amdhsa_float_denorm_mode_32 3
		.amdhsa_float_denorm_mode_16_64 3
		.amdhsa_dx10_clamp 1
		.amdhsa_ieee_mode 1
		.amdhsa_fp16_overflow 0
		.amdhsa_tg_split 0
		.amdhsa_exception_fp_ieee_invalid_op 0
		.amdhsa_exception_fp_denorm_src 0
		.amdhsa_exception_fp_ieee_div_zero 0
		.amdhsa_exception_fp_ieee_overflow 0
		.amdhsa_exception_fp_ieee_underflow 0
		.amdhsa_exception_fp_ieee_inexact 0
		.amdhsa_exception_int_div_zero 0
	.end_amdhsa_kernel
	.section	.text._ZN9rocsparseL29bsrmm_general_blockdim_kernelILj32ELj32Eli21rocsparse_complex_numIdES2_S2_S2_EEvb20rocsparse_direction_T2_S4_llNS_24const_host_device_scalarIT6_EEPKT1_PKS4_PKT3_S4_PKT4_llS7_PT5_ll16rocsparse_order_21rocsparse_index_base_b,"axG",@progbits,_ZN9rocsparseL29bsrmm_general_blockdim_kernelILj32ELj32Eli21rocsparse_complex_numIdES2_S2_S2_EEvb20rocsparse_direction_T2_S4_llNS_24const_host_device_scalarIT6_EEPKT1_PKS4_PKT3_S4_PKT4_llS7_PT5_ll16rocsparse_order_21rocsparse_index_base_b,comdat
.Lfunc_end10:
	.size	_ZN9rocsparseL29bsrmm_general_blockdim_kernelILj32ELj32Eli21rocsparse_complex_numIdES2_S2_S2_EEvb20rocsparse_direction_T2_S4_llNS_24const_host_device_scalarIT6_EEPKT1_PKS4_PKT3_S4_PKT4_llS7_PT5_ll16rocsparse_order_21rocsparse_index_base_b, .Lfunc_end10-_ZN9rocsparseL29bsrmm_general_blockdim_kernelILj32ELj32Eli21rocsparse_complex_numIdES2_S2_S2_EEvb20rocsparse_direction_T2_S4_llNS_24const_host_device_scalarIT6_EEPKT1_PKS4_PKT3_S4_PKT4_llS7_PT5_ll16rocsparse_order_21rocsparse_index_base_b
                                        ; -- End function
	.section	.AMDGPU.csdata,"",@progbits
; Kernel info:
; codeLenInByte = 3180
; NumSgprs: 60
; NumVgprs: 54
; NumAgprs: 0
; TotalNumVgprs: 54
; ScratchSize: 24
; MemoryBound: 1
; FloatMode: 240
; IeeeMode: 1
; LDSByteSize: 32768 bytes/workgroup (compile time only)
; SGPRBlocks: 7
; VGPRBlocks: 6
; NumSGPRsForWavesPerEU: 60
; NumVGPRsForWavesPerEU: 54
; AccumOffset: 56
; Occupancy: 8
; WaveLimiterHint : 1
; COMPUTE_PGM_RSRC2:SCRATCH_EN: 1
; COMPUTE_PGM_RSRC2:USER_SGPR: 8
; COMPUTE_PGM_RSRC2:TRAP_HANDLER: 0
; COMPUTE_PGM_RSRC2:TGID_X_EN: 1
; COMPUTE_PGM_RSRC2:TGID_Y_EN: 1
; COMPUTE_PGM_RSRC2:TGID_Z_EN: 0
; COMPUTE_PGM_RSRC2:TIDIG_COMP_CNT: 1
; COMPUTE_PGM_RSRC3_GFX90A:ACCUM_OFFSET: 13
; COMPUTE_PGM_RSRC3_GFX90A:TG_SPLIT: 0
	.section	.text._ZN9rocsparseL29bsrmm_general_blockdim_kernelILj32ELj32Ell21rocsparse_complex_numIdES2_S2_S2_EEvb20rocsparse_direction_T2_S4_llNS_24const_host_device_scalarIT6_EEPKT1_PKS4_PKT3_S4_PKT4_llS7_PT5_ll16rocsparse_order_21rocsparse_index_base_b,"axG",@progbits,_ZN9rocsparseL29bsrmm_general_blockdim_kernelILj32ELj32Ell21rocsparse_complex_numIdES2_S2_S2_EEvb20rocsparse_direction_T2_S4_llNS_24const_host_device_scalarIT6_EEPKT1_PKS4_PKT3_S4_PKT4_llS7_PT5_ll16rocsparse_order_21rocsparse_index_base_b,comdat
	.globl	_ZN9rocsparseL29bsrmm_general_blockdim_kernelILj32ELj32Ell21rocsparse_complex_numIdES2_S2_S2_EEvb20rocsparse_direction_T2_S4_llNS_24const_host_device_scalarIT6_EEPKT1_PKS4_PKT3_S4_PKT4_llS7_PT5_ll16rocsparse_order_21rocsparse_index_base_b ; -- Begin function _ZN9rocsparseL29bsrmm_general_blockdim_kernelILj32ELj32Ell21rocsparse_complex_numIdES2_S2_S2_EEvb20rocsparse_direction_T2_S4_llNS_24const_host_device_scalarIT6_EEPKT1_PKS4_PKT3_S4_PKT4_llS7_PT5_ll16rocsparse_order_21rocsparse_index_base_b
	.p2align	8
	.type	_ZN9rocsparseL29bsrmm_general_blockdim_kernelILj32ELj32Ell21rocsparse_complex_numIdES2_S2_S2_EEvb20rocsparse_direction_T2_S4_llNS_24const_host_device_scalarIT6_EEPKT1_PKS4_PKT3_S4_PKT4_llS7_PT5_ll16rocsparse_order_21rocsparse_index_base_b,@function
_ZN9rocsparseL29bsrmm_general_blockdim_kernelILj32ELj32Ell21rocsparse_complex_numIdES2_S2_S2_EEvb20rocsparse_direction_T2_S4_llNS_24const_host_device_scalarIT6_EEPKT1_PKS4_PKT3_S4_PKT4_llS7_PT5_ll16rocsparse_order_21rocsparse_index_base_b: ; @_ZN9rocsparseL29bsrmm_general_blockdim_kernelILj32ELj32Ell21rocsparse_complex_numIdES2_S2_S2_EEvb20rocsparse_direction_T2_S4_llNS_24const_host_device_scalarIT6_EEPKT1_PKS4_PKT3_S4_PKT4_llS7_PT5_ll16rocsparse_order_21rocsparse_index_base_b
; %bb.0:
	s_add_u32 flat_scratch_lo, s6, s10
	s_load_dwordx4 s[24:27], s[4:5], 0x98
	s_load_dwordx4 s[16:19], s[4:5], 0x28
	s_addc_u32 flat_scratch_hi, s7, 0
	s_add_u32 s0, s0, s10
	s_load_dwordx4 s[12:15], s[4:5], 0x70
	s_addc_u32 s1, s1, 0
	s_waitcnt lgkmcnt(0)
	s_bitcmp1_b32 s26, 0
	v_mov_b32_e32 v1, 0
	v_mov_b32_e32 v3, s16
	s_cselect_b64 s[6:7], -1, 0
	v_cndmask_b32_e64 v2, v3, v1, s[6:7]
	v_mov_b32_e32 v1, s17
	s_mov_b64 s[20:21], src_private_base
	s_and_b64 vcc, s[6:7], exec
	buffer_store_dword v1, off, s[0:3], 0 offset:4
	buffer_store_dword v3, off, s[0:3], 0
	v_mov_b32_e32 v1, s13
	s_mov_b32 s10, s9
	s_cselect_b32 s9, s21, s17
	buffer_store_dword v1, off, s[0:3], 0 offset:12
	v_mov_b32_e32 v1, s12
	buffer_store_dword v1, off, s[0:3], 0 offset:8
	v_mov_b32_e32 v3, s9
	flat_load_dwordx2 v[4:5], v[2:3]
	s_xor_b64 s[22:23], s[6:7], -1
	v_pk_mov_b32 v[6:7], s[18:19], s[18:19] op_sel:[0,1]
	s_cbranch_vccnz .LBB11_2
; %bb.1:
	v_pk_mov_b32 v[2:3], s[16:17], s[16:17] op_sel:[0,1]
	flat_load_dwordx2 v[6:7], v[2:3] offset:8
.LBB11_2:
	s_and_b64 s[16:17], s[6:7], exec
	s_cselect_b32 s9, s21, s13
	v_mov_b32_e32 v1, 8
	v_mov_b32_e32 v2, s12
	v_cndmask_b32_e64 v2, v2, v1, s[6:7]
	v_mov_b32_e32 v3, s9
	flat_load_dwordx2 v[8:9], v[2:3]
	s_andn2_b64 vcc, exec, s[22:23]
	v_pk_mov_b32 v[10:11], s[14:15], s[14:15] op_sel:[0,1]
	s_cbranch_vccnz .LBB11_4
; %bb.3:
	v_pk_mov_b32 v[2:3], s[12:13], s[12:13] op_sel:[0,1]
	flat_load_dwordx2 v[10:11], v[2:3] offset:8
.LBB11_4:
	s_waitcnt vmcnt(0) lgkmcnt(0)
	v_cmp_eq_f64_e32 vcc, 0, v[4:5]
	v_cmp_eq_f64_e64 s[6:7], 0, v[6:7]
	s_and_b64 s[14:15], vcc, s[6:7]
	s_mov_b64 s[6:7], -1
	s_and_saveexec_b64 s[12:13], s[14:15]
; %bb.5:
	v_cmp_neq_f64_e32 vcc, 1.0, v[8:9]
	v_cmp_neq_f64_e64 s[6:7], 0, v[10:11]
	s_or_b64 s[6:7], vcc, s[6:7]
	s_orn2_b64 s[6:7], s[6:7], exec
; %bb.6:
	s_or_b64 exec, exec, s[12:13]
	s_and_saveexec_b64 s[12:13], s[6:7]
	s_cbranch_execz .LBB11_54
; %bb.7:
	s_load_dwordx4 s[28:31], s[4:5], 0x8
	s_load_dwordx2 s[12:13], s[4:5], 0x38
	s_ashr_i32 s9, s8, 31
	s_mov_b64 s[26:27], 0
	s_waitcnt lgkmcnt(0)
	v_pk_mov_b32 v[2:3], s[28:29], s[28:29] op_sel:[0,1]
	v_cmp_ge_i64_e32 vcc, s[8:9], v[2:3]
	v_cmp_lt_i64_e64 s[6:7], s[8:9], v[2:3]
	s_mov_b64 s[28:29], 0
	s_cbranch_vccz .LBB11_10
; %bb.8:
	s_andn2_b64 vcc, exec, s[6:7]
	s_cbranch_vccz .LBB11_11
.LBB11_9:
	s_load_dwordx2 s[34:35], s[4:5], 0x50
	s_waitcnt lgkmcnt(0)
	v_cmp_lt_i64_e64 s[12:13], s[34:35], 1
	s_and_b64 vcc, exec, s[12:13]
	s_cbranch_vccz .LBB11_12
	s_branch .LBB11_54
.LBB11_10:
	s_lshl_b64 s[14:15], s[8:9], 3
	s_add_u32 s14, s12, s14
	s_addc_u32 s15, s13, s15
	s_load_dwordx2 s[14:15], s[14:15], 0x0
	s_waitcnt lgkmcnt(0)
	s_sub_u32 s28, s14, s25
	s_subb_u32 s29, s15, 0
	s_andn2_b64 vcc, exec, s[6:7]
	s_cbranch_vccnz .LBB11_9
.LBB11_11:
	s_lshl_b64 s[14:15], s[8:9], 3
	s_add_u32 s12, s12, s14
	s_addc_u32 s13, s13, s15
	s_load_dwordx2 s[12:13], s[12:13], 0x8
	s_waitcnt lgkmcnt(0)
	s_sub_u32 s26, s12, s25
	s_subb_u32 s27, s13, 0
	s_load_dwordx2 s[34:35], s[4:5], 0x50
	s_waitcnt lgkmcnt(0)
	v_cmp_lt_i64_e64 s[12:13], s[34:35], 1
	s_and_b64 vcc, exec, s[12:13]
	s_cbranch_vccnz .LBB11_54
.LBB11_12:
	s_load_dwordx4 s[12:15], s[4:5], 0x80
	s_load_dwordx4 s[16:19], s[4:5], 0x58
	;; [unrolled: 1-line block ×3, first 2 shown]
	s_load_dwordx2 s[38:39], s[4:5], 0x0
	v_bfe_u32 v12, v0, 10, 10
	v_lshl_add_u32 v2, s10, 5, v12
	v_mov_b32_e32 v3, 0
	v_lshlrev_b64 v[16:17], 4, v[2:3]
	s_waitcnt lgkmcnt(0)
	s_bitcmp1_b32 s38, 0
	s_cselect_b64 s[4:5], -1, 0
	s_xor_b64 s[10:11], s[4:5], -1
	s_mul_i32 s4, s8, s35
	s_mul_hi_u32 s5, s8, s34
	v_mov_b32_e32 v20, s13
	v_add_co_u32_e32 v13, vcc, s12, v16
	s_add_i32 s33, s5, s4
	s_mul_i32 s4, s34, s35
	s_mul_hi_u32 s5, s34, s34
	v_addc_co_u32_e32 v15, vcc, v20, v17, vcc
	s_add_i32 s5, s5, s4
	s_add_i32 s37, s5, s4
	v_mov_b32_e32 v21, s17
	v_add_co_u32_e32 v34, vcc, s16, v16
	v_addc_co_u32_e32 v35, vcc, v21, v17, vcc
	v_cmp_gt_i64_e64 s[4:5], s[30:31], v[2:3]
	s_cmp_lg_u32 s39, 0
	v_and_b32_e32 v14, 0x3ff, v0
	v_lshlrev_b32_e32 v16, 5, v12
	s_cselect_b64 s[30:31], -1, 0
	s_and_b64 s[38:39], s[6:7], s[4:5]
	v_cmp_neq_f64_e32 vcc, 0, v[8:9]
	v_cmp_neq_f64_e64 s[6:7], 0, v[10:11]
	v_add_lshl_u32 v36, v16, v14, 4
	s_or_b64 s[42:43], vcc, s[6:7]
	v_mad_u64_u32 v[16:17], s[6:7], v2, s14, 0
	v_mov_b32_e32 v18, v17
	v_mad_u64_u32 v[18:19], s[6:7], v2, s15, v[18:19]
	v_mov_b32_e32 v17, v18
	v_lshlrev_b64 v[16:17], 4, v[16:17]
	v_add_co_u32_e32 v38, vcc, s12, v16
	v_mov_b32_e32 v16, 0x4000
	v_addc_co_u32_e32 v39, vcc, v20, v17, vcc
	v_lshl_add_u32 v41, v12, 9, v16
	v_mad_u64_u32 v[16:17], s[6:7], s18, v2, 0
	v_mov_b32_e32 v18, v17
	v_mad_u64_u32 v[18:19], s[6:7], s19, v2, v[18:19]
	v_mov_b32_e32 v17, v18
	v_lshlrev_b32_e32 v40, 4, v14
	v_lshlrev_b64 v[16:17], 4, v[16:17]
	s_cmp_lg_u32 s24, 1
	v_add_co_u32_e32 v2, vcc, v16, v40
	s_mul_i32 s6, s28, s35
	s_mul_hi_u32 s7, s28, s34
	s_mov_b32 s59, s25
	s_cselect_b64 s[24:25], -1, 0
	v_addc_co_u32_e32 v17, vcc, 0, v17, vcc
	s_add_i32 s6, s7, s6
	s_mul_i32 s7, s29, s34
	v_add_co_u32_e32 v16, vcc, s16, v2
	s_add_i32 s7, s6, s7
	s_mul_i32 s6, s28, s34
	v_addc_co_u32_e32 v17, vcc, v21, v17, vcc
	s_lshl_b64 s[6:7], s[6:7], 4
	v_mov_b32_e32 v2, s7
	v_add_co_u32_e32 v18, vcc, s6, v40
	v_addc_co_u32_e32 v19, vcc, 0, v2, vcc
	v_lshlrev_b32_e32 v2, 4, v12
	v_mul_lo_u32 v19, s34, v19
	v_mul_lo_u32 v20, s35, v18
	v_mad_u64_u32 v[2:3], s[6:7], s34, v18, v[2:3]
	s_mul_i32 s36, s34, s34
	v_pk_mov_b32 v[0:1], s[26:27], s[26:27] op_sel:[0,1]
	v_add3_u32 v3, v20, v3, v19
	v_mov_b32_e32 v42, s23
	v_add_co_u32_e32 v18, vcc, s22, v2
	s_mul_i32 s58, s8, s34
	v_add_u32_e32 v37, 0x4000, v36
	s_mov_b64 s[40:41], 0
	s_lshl_b64 s[12:13], s[34:35], 4
	v_addc_co_u32_e32 v19, vcc, v42, v3, vcc
	s_lshl_b64 s[16:17], s[34:35], 9
	s_lshl_b64 s[44:45], s[36:37], 4
	v_cmp_lt_i64_e64 s[6:7], s[28:29], v[0:1]
	s_branch .LBB11_14
.LBB11_13:                              ;   in Loop: Header=BB11_14 Depth=1
	s_or_b64 exec, exec, s[8:9]
	s_add_u32 s40, s40, 32
	v_mov_b32_e32 v0, s17
	v_add_co_u32_e32 v18, vcc, s16, v18
	s_addc_u32 s41, s41, 0
	v_addc_co_u32_e32 v19, vcc, v19, v0, vcc
	v_pk_mov_b32 v[0:1], s[34:35], s[34:35] op_sel:[0,1]
	v_cmp_lt_i64_e32 vcc, s[40:41], v[0:1]
	s_cbranch_vccz .LBB11_54
.LBB11_14:                              ; =>This Loop Header: Depth=1
                                        ;     Child Loop BB11_17 Depth 2
                                        ;       Child Loop BB11_19 Depth 3
	v_mov_b32_e32 v0, s41
	v_add_co_u32_e32 v22, vcc, s40, v14
	v_addc_co_u32_e32 v23, vcc, 0, v0, vcc
	v_pk_mov_b32 v[20:21], 0, 0
	s_andn2_b64 vcc, exec, s[6:7]
	v_cmp_gt_i64_e64 s[8:9], s[34:35], v[22:23]
	v_pk_mov_b32 v[30:31], v[20:21], v[20:21] op_sel:[0,1]
	s_cbranch_vccnz .LBB11_43
; %bb.15:                               ;   in Loop: Header=BB11_14 Depth=1
	v_lshlrev_b64 v[0:1], 4, v[22:23]
	v_add_co_u32_e32 v43, vcc, s22, v0
	v_pk_mov_b32 v[20:21], 0, 0
	v_addc_co_u32_e32 v44, vcc, v42, v1, vcc
	v_pk_mov_b32 v[24:25], v[18:19], v[18:19] op_sel:[0,1]
	s_mov_b64 s[46:47], s[28:29]
	v_pk_mov_b32 v[30:31], v[20:21], v[20:21] op_sel:[0,1]
	s_branch .LBB11_17
.LBB11_16:                              ;   in Loop: Header=BB11_17 Depth=2
	s_add_u32 s46, s46, 1
	v_mov_b32_e32 v0, s45
	v_add_co_u32_e32 v24, vcc, s44, v24
	s_addc_u32 s47, s47, 0
	v_addc_co_u32_e32 v25, vcc, v25, v0, vcc
	v_pk_mov_b32 v[0:1], s[26:27], s[26:27] op_sel:[0,1]
	v_cmp_ge_i64_e32 vcc, s[46:47], v[0:1]
	s_cbranch_vccnz .LBB11_43
.LBB11_17:                              ;   Parent Loop BB11_14 Depth=1
                                        ; =>  This Loop Header: Depth=2
                                        ;       Child Loop BB11_19 Depth 3
	s_mul_i32 s23, s36, s47
	s_mul_hi_u32 s48, s36, s46
	s_add_i32 s23, s48, s23
	s_mul_i32 s48, s37, s46
	s_add_i32 s49, s23, s48
	s_lshl_b64 s[50:51], s[46:47], 3
	s_add_u32 s50, s20, s50
	s_addc_u32 s51, s21, s51
	s_load_dwordx2 s[50:51], s[50:51], 0x0
	s_mul_i32 s48, s36, s46
	v_pk_mov_b32 v[28:29], v[24:25], v[24:25] op_sel:[0,1]
	s_waitcnt lgkmcnt(0)
	s_sub_u32 s50, s50, s59
	s_subb_u32 s51, s51, 0
	s_lshl_b64 s[48:49], s[48:49], 4
	v_mov_b32_e32 v0, s49
	v_add_co_u32_e32 v45, vcc, s48, v43
	s_mul_i32 s23, s50, s35
	s_mul_hi_u32 s52, s50, s34
	v_addc_co_u32_e32 v46, vcc, v44, v0, vcc
	s_mul_i32 s48, s13, s50
	s_mul_i32 s49, s12, s51
	v_mov_b32_e32 v0, s50
	s_add_i32 s23, s52, s23
	s_mul_i32 s52, s51, s34
	s_add_i32 s51, s49, s48
	v_mad_u64_u32 v[26:27], s[48:49], s12, v0, v[16:17]
	s_add_i32 s23, s23, s52
	s_mul_i32 s60, s50, s34
	v_add_u32_e32 v27, s51, v27
	s_mov_b64 s[48:49], 0
	s_branch .LBB11_19
.LBB11_18:                              ;   in Loop: Header=BB11_19 Depth=3
	s_or_b64 exec, exec, s[50:51]
	s_waitcnt vmcnt(0)
	ds_write_b128 v36, v[0:3]
	s_waitcnt lgkmcnt(0)
	s_barrier
	ds_read_b128 v[0:3], v40
	ds_read_b128 v[48:51], v41
	ds_read_b128 v[52:55], v41 offset:16
	ds_read_b128 v[56:59], v41 offset:32
	;; [unrolled: 1-line block ×4, first 2 shown]
	s_waitcnt lgkmcnt(4)
	v_fmac_f64_e32 v[30:31], v[0:1], v[48:49]
	v_fmac_f64_e32 v[20:21], v[2:3], v[48:49]
	v_fma_f64 v[30:31], -v[2:3], v[50:51], v[30:31]
	v_fmac_f64_e32 v[20:21], v[0:1], v[50:51]
	ds_read_b128 v[0:3], v40 offset:1024
	s_waitcnt lgkmcnt(1)
	v_fmac_f64_e32 v[30:31], v[64:65], v[52:53]
	v_fma_f64 v[48:49], -v[66:67], v[54:55], v[30:31]
	ds_read_b128 v[30:33], v40 offset:1536
	v_fmac_f64_e32 v[20:21], v[66:67], v[52:53]
	s_waitcnt lgkmcnt(1)
	v_fmac_f64_e32 v[48:49], v[0:1], v[56:57]
	v_fmac_f64_e32 v[20:21], v[64:65], v[54:55]
	v_fma_f64 v[48:49], -v[2:3], v[58:59], v[48:49]
	v_fmac_f64_e32 v[20:21], v[2:3], v[56:57]
	s_waitcnt lgkmcnt(0)
	v_fmac_f64_e32 v[48:49], v[30:31], v[60:61]
	v_fmac_f64_e32 v[20:21], v[0:1], v[58:59]
	v_fma_f64 v[56:57], -v[32:33], v[62:63], v[48:49]
	ds_read_b128 v[0:3], v41 offset:64
	ds_read_b128 v[48:51], v40 offset:2048
	v_fmac_f64_e32 v[20:21], v[32:33], v[60:61]
	v_fmac_f64_e32 v[20:21], v[30:31], v[62:63]
	ds_read_b128 v[30:33], v40 offset:2560
	ds_read_b128 v[52:55], v41 offset:80
	v_add_co_u32_e32 v26, vcc, 0x200, v26
	s_waitcnt lgkmcnt(2)
	v_fmac_f64_e32 v[56:57], v[48:49], v[0:1]
	v_fmac_f64_e32 v[20:21], v[50:51], v[0:1]
	v_fma_f64 v[56:57], -v[50:51], v[2:3], v[56:57]
	v_fmac_f64_e32 v[20:21], v[48:49], v[2:3]
	ds_read_b128 v[0:3], v41 offset:96
	ds_read_b128 v[48:51], v40 offset:3072
	s_waitcnt lgkmcnt(2)
	v_fmac_f64_e32 v[56:57], v[30:31], v[52:53]
	v_fmac_f64_e32 v[20:21], v[32:33], v[52:53]
	v_fma_f64 v[56:57], -v[32:33], v[54:55], v[56:57]
	v_fmac_f64_e32 v[20:21], v[30:31], v[54:55]
	ds_read_b128 v[30:33], v40 offset:3584
	ds_read_b128 v[52:55], v41 offset:112
	;; [unrolled: 7-line block ×26, first 2 shown]
	v_addc_co_u32_e32 v27, vcc, 0, v27, vcc
	s_waitcnt lgkmcnt(2)
	v_fmac_f64_e32 v[60:61], v[48:49], v[0:1]
	v_fmac_f64_e32 v[20:21], v[50:51], v[0:1]
	s_add_u32 s48, s48, 32
	v_add_co_u32_e32 v28, vcc, 0x200, v28
	v_fma_f64 v[30:31], -v[50:51], v[2:3], v[60:61]
	v_fmac_f64_e32 v[20:21], v[48:49], v[2:3]
	s_addc_u32 s49, s49, 0
	v_addc_co_u32_e32 v29, vcc, 0, v29, vcc
	v_pk_mov_b32 v[0:1], s[34:35], s[34:35] op_sel:[0,1]
	s_waitcnt lgkmcnt(0)
	v_fmac_f64_e32 v[30:31], v[52:53], v[56:57]
	v_fmac_f64_e32 v[20:21], v[54:55], v[56:57]
	v_cmp_ge_i64_e32 vcc, s[48:49], v[0:1]
	v_fma_f64 v[30:31], -v[54:55], v[58:59], v[30:31]
	v_fmac_f64_e32 v[20:21], v[52:53], v[58:59]
	s_barrier
	s_cbranch_vccnz .LBB11_16
.LBB11_19:                              ;   Parent Loop BB11_14 Depth=1
                                        ;     Parent Loop BB11_17 Depth=2
                                        ; =>    This Inner Loop Header: Depth=3
	s_and_b64 vcc, exec, s[10:11]
	s_cbranch_vccz .LBB11_25
; %bb.20:                               ;   in Loop: Header=BB11_19 Depth=3
	s_mov_b64 s[50:51], 0
	s_mov_b64 s[52:53], 0
                                        ; implicit-def: $vgpr32_vgpr33
	s_and_saveexec_b64 s[54:55], s[4:5]
	s_cbranch_execz .LBB11_24
; %bb.21:                               ;   in Loop: Header=BB11_19 Depth=3
	v_mov_b32_e32 v1, s49
	v_add_co_u32_e32 v0, vcc, s48, v14
	v_addc_co_u32_e32 v1, vcc, 0, v1, vcc
	v_cmp_gt_i64_e32 vcc, s[34:35], v[0:1]
                                        ; implicit-def: $vgpr32_vgpr33
	s_and_saveexec_b64 s[56:57], vcc
	s_xor_b64 s[56:57], exec, s[56:57]
; %bb.22:                               ;   in Loop: Header=BB11_19 Depth=3
	v_mov_b32_e32 v2, s23
	v_add_co_u32_e32 v0, vcc, s60, v0
	v_addc_co_u32_e32 v1, vcc, v1, v2, vcc
	v_mul_lo_u32 v2, v1, s18
	v_mul_lo_u32 v3, v0, s19
	v_mad_u64_u32 v[0:1], s[62:63], v0, s18, 0
	v_add3_u32 v1, v1, v3, v2
	v_lshlrev_b64 v[0:1], 4, v[0:1]
	v_add_co_u32_e32 v32, vcc, v34, v0
	s_mov_b64 s[52:53], exec
	v_addc_co_u32_e32 v33, vcc, v35, v1, vcc
; %bb.23:                               ;   in Loop: Header=BB11_19 Depth=3
	s_or_b64 exec, exec, s[56:57]
	s_and_b64 s[52:53], s[52:53], exec
.LBB11_24:                              ;   in Loop: Header=BB11_19 Depth=3
	s_or_b64 exec, exec, s[54:55]
	s_and_b64 vcc, exec, s[50:51]
	s_cbranch_vccnz .LBB11_26
	s_branch .LBB11_29
.LBB11_25:                              ;   in Loop: Header=BB11_19 Depth=3
	s_mov_b64 s[50:51], -1
	s_mov_b64 s[52:53], 0
                                        ; implicit-def: $vgpr32_vgpr33
	s_cbranch_execz .LBB11_29
.LBB11_26:                              ;   in Loop: Header=BB11_19 Depth=3
	s_and_saveexec_b64 s[50:51], s[4:5]
; %bb.27:                               ;   in Loop: Header=BB11_19 Depth=3
	v_mov_b32_e32 v1, s49
	v_add_co_u32_e32 v0, vcc, s48, v14
	v_addc_co_u32_e32 v1, vcc, 0, v1, vcc
	v_cmp_gt_i64_e32 vcc, s[34:35], v[0:1]
	s_andn2_b64 s[52:53], s[52:53], exec
	s_and_b64 s[54:55], vcc, exec
	s_or_b64 s[52:53], s[52:53], s[54:55]
; %bb.28:                               ;   in Loop: Header=BB11_19 Depth=3
	s_or_b64 exec, exec, s[50:51]
	s_mov_b64 s[50:51], 0
	v_pk_mov_b32 v[32:33], v[26:27], v[26:27] op_sel:[0,1]
.LBB11_29:                              ;   in Loop: Header=BB11_19 Depth=3
	v_pk_mov_b32 v[0:1], s[50:51], s[50:51] op_sel:[0,1]
	v_pk_mov_b32 v[2:3], s[50:51], s[50:51] op_sel:[0,1]
	s_and_saveexec_b64 s[50:51], s[52:53]
	s_cbranch_execnz .LBB11_37
; %bb.30:                               ;   in Loop: Header=BB11_19 Depth=3
	s_or_b64 exec, exec, s[50:51]
	s_and_b64 vcc, exec, s[30:31]
	ds_write_b128 v37, v[0:3]
	s_cbranch_vccz .LBB11_38
.LBB11_31:                              ;   in Loop: Header=BB11_19 Depth=3
	s_mov_b64 s[50:51], 0
	s_mov_b64 s[52:53], 0
                                        ; implicit-def: $vgpr32_vgpr33
	s_and_saveexec_b64 s[54:55], s[8:9]
	s_cbranch_execz .LBB11_35
; %bb.32:                               ;   in Loop: Header=BB11_19 Depth=3
	v_mov_b32_e32 v1, s49
	v_add_co_u32_e32 v0, vcc, s48, v12
	v_addc_co_u32_e32 v1, vcc, 0, v1, vcc
	v_cmp_gt_i64_e32 vcc, s[34:35], v[0:1]
                                        ; implicit-def: $vgpr32_vgpr33
	s_and_saveexec_b64 s[56:57], vcc
	s_xor_b64 s[56:57], exec, s[56:57]
; %bb.33:                               ;   in Loop: Header=BB11_19 Depth=3
	v_mul_lo_u32 v2, v1, s34
	v_mul_lo_u32 v3, v0, s35
	v_mad_u64_u32 v[0:1], s[62:63], v0, s34, 0
	v_add3_u32 v1, v1, v3, v2
	v_lshlrev_b64 v[0:1], 4, v[0:1]
	v_add_co_u32_e32 v32, vcc, v45, v0
	s_mov_b64 s[52:53], exec
	v_addc_co_u32_e32 v33, vcc, v46, v1, vcc
; %bb.34:                               ;   in Loop: Header=BB11_19 Depth=3
	s_or_b64 exec, exec, s[56:57]
	s_and_b64 s[52:53], s[52:53], exec
.LBB11_35:                              ;   in Loop: Header=BB11_19 Depth=3
	s_or_b64 exec, exec, s[54:55]
	s_and_b64 vcc, exec, s[50:51]
	s_cbranch_vccnz .LBB11_39
.LBB11_36:                              ;   in Loop: Header=BB11_19 Depth=3
	v_pk_mov_b32 v[0:1], s[50:51], s[50:51] op_sel:[0,1]
	v_pk_mov_b32 v[2:3], s[50:51], s[50:51] op_sel:[0,1]
	s_and_saveexec_b64 s[50:51], s[52:53]
	s_cbranch_execz .LBB11_18
	s_branch .LBB11_42
.LBB11_37:                              ;   in Loop: Header=BB11_19 Depth=3
	global_load_dwordx4 v[0:3], v[32:33], off
	s_or_b64 exec, exec, s[50:51]
	s_and_b64 vcc, exec, s[30:31]
	s_waitcnt vmcnt(0)
	ds_write_b128 v37, v[0:3]
	s_cbranch_vccnz .LBB11_31
.LBB11_38:                              ;   in Loop: Header=BB11_19 Depth=3
	s_mov_b64 s[50:51], -1
	s_mov_b64 s[52:53], 0
                                        ; implicit-def: $vgpr32_vgpr33
	s_cbranch_execz .LBB11_36
.LBB11_39:                              ;   in Loop: Header=BB11_19 Depth=3
	s_and_saveexec_b64 s[50:51], s[8:9]
; %bb.40:                               ;   in Loop: Header=BB11_19 Depth=3
	v_mov_b32_e32 v1, s49
	v_add_co_u32_e32 v0, vcc, s48, v12
	v_addc_co_u32_e32 v1, vcc, 0, v1, vcc
	v_cmp_gt_i64_e32 vcc, s[34:35], v[0:1]
	s_andn2_b64 s[52:53], s[52:53], exec
	s_and_b64 s[54:55], vcc, exec
	s_or_b64 s[52:53], s[52:53], s[54:55]
; %bb.41:                               ;   in Loop: Header=BB11_19 Depth=3
	s_or_b64 exec, exec, s[50:51]
	s_mov_b64 s[50:51], 0
	v_pk_mov_b32 v[32:33], v[28:29], v[28:29] op_sel:[0,1]
	v_pk_mov_b32 v[0:1], s[50:51], s[50:51] op_sel:[0,1]
	;; [unrolled: 1-line block ×3, first 2 shown]
	s_and_saveexec_b64 s[50:51], s[52:53]
	s_cbranch_execz .LBB11_18
.LBB11_42:                              ;   in Loop: Header=BB11_19 Depth=3
	global_load_dwordx4 v[0:3], v[32:33], off
	s_branch .LBB11_18
.LBB11_43:                              ;   in Loop: Header=BB11_14 Depth=1
	v_cmp_gt_i64_e32 vcc, s[34:35], v[22:23]
	s_and_b64 s[46:47], s[38:39], vcc
	s_and_saveexec_b64 s[8:9], s[46:47]
	s_cbranch_execz .LBB11_13
; %bb.44:                               ;   in Loop: Header=BB11_14 Depth=1
	v_mov_b32_e32 v0, s33
	v_add_co_u32_e32 v22, vcc, s58, v22
	v_addc_co_u32_e32 v23, vcc, v23, v0, vcc
	s_and_saveexec_b64 s[46:47], s[42:43]
	s_xor_b64 s[46:47], exec, s[46:47]
	s_cbranch_execz .LBB11_49
; %bb.45:                               ;   in Loop: Header=BB11_14 Depth=1
	s_mov_b64 s[48:49], -1
	s_and_b64 vcc, exec, s[24:25]
	s_cbranch_vccz .LBB11_47
; %bb.46:                               ;   in Loop: Header=BB11_14 Depth=1
	v_mul_lo_u32 v2, v23, s14
	v_mul_lo_u32 v3, v22, s15
	v_mad_u64_u32 v[0:1], s[48:49], v22, s14, 0
	v_add3_u32 v1, v1, v3, v2
	v_lshlrev_b64 v[0:1], 4, v[0:1]
	v_add_co_u32_e32 v28, vcc, v13, v0
	v_addc_co_u32_e32 v29, vcc, v15, v1, vcc
	global_load_dwordx4 v[0:3], v[28:29], off
	v_mul_f64 v[24:25], v[20:21], -v[6:7]
	v_mul_f64 v[26:27], v[4:5], v[20:21]
	v_fmac_f64_e32 v[24:25], v[4:5], v[30:31]
	v_fmac_f64_e32 v[26:27], v[6:7], v[30:31]
	s_mov_b64 s[48:49], 0
	s_waitcnt vmcnt(0)
	v_fmac_f64_e32 v[24:25], v[8:9], v[0:1]
	v_fmac_f64_e32 v[26:27], v[10:11], v[0:1]
	v_fma_f64 v[24:25], -v[10:11], v[2:3], v[24:25]
	v_fmac_f64_e32 v[26:27], v[8:9], v[2:3]
	global_store_dwordx4 v[28:29], v[24:27], off
.LBB11_47:                              ;   in Loop: Header=BB11_14 Depth=1
	s_andn2_b64 vcc, exec, s[48:49]
	s_cbranch_vccnz .LBB11_49
; %bb.48:                               ;   in Loop: Header=BB11_14 Depth=1
	v_lshlrev_b64 v[0:1], 4, v[22:23]
	v_add_co_u32_e32 v24, vcc, v38, v0
	v_addc_co_u32_e32 v25, vcc, v39, v1, vcc
	global_load_dwordx4 v[0:3], v[24:25], off
	v_mul_f64 v[26:27], v[20:21], -v[6:7]
	v_mul_f64 v[22:23], v[4:5], v[20:21]
	v_fmac_f64_e32 v[26:27], v[4:5], v[30:31]
	v_fmac_f64_e32 v[22:23], v[6:7], v[30:31]
                                        ; implicit-def: $vgpr30_vgpr31
	s_waitcnt vmcnt(0)
	v_fmac_f64_e32 v[26:27], v[8:9], v[0:1]
	v_fmac_f64_e32 v[22:23], v[10:11], v[0:1]
	v_fma_f64 v[20:21], -v[10:11], v[2:3], v[26:27]
	v_fmac_f64_e32 v[22:23], v[8:9], v[2:3]
	global_store_dwordx4 v[24:25], v[20:23], off
                                        ; implicit-def: $vgpr22_vgpr23
                                        ; implicit-def: $vgpr20_vgpr21
.LBB11_49:                              ;   in Loop: Header=BB11_14 Depth=1
	s_andn2_saveexec_b64 s[46:47], s[46:47]
	s_cbranch_execz .LBB11_13
; %bb.50:                               ;   in Loop: Header=BB11_14 Depth=1
	v_mul_f64 v[0:1], v[20:21], -v[6:7]
	v_mul_f64 v[2:3], v[4:5], v[20:21]
	v_fmac_f64_e32 v[0:1], v[4:5], v[30:31]
	v_fmac_f64_e32 v[2:3], v[6:7], v[30:31]
	s_mov_b64 s[46:47], -1
	s_and_b64 vcc, exec, s[24:25]
	s_cbranch_vccz .LBB11_52
; %bb.51:                               ;   in Loop: Header=BB11_14 Depth=1
	v_mul_lo_u32 v24, v23, s14
	v_mul_lo_u32 v25, v22, s15
	v_mad_u64_u32 v[20:21], s[46:47], v22, s14, 0
	v_add3_u32 v21, v21, v25, v24
	v_lshlrev_b64 v[20:21], 4, v[20:21]
	v_add_co_u32_e32 v20, vcc, v13, v20
	v_addc_co_u32_e32 v21, vcc, v15, v21, vcc
	global_store_dwordx4 v[20:21], v[0:3], off
	s_mov_b64 s[46:47], 0
.LBB11_52:                              ;   in Loop: Header=BB11_14 Depth=1
	s_andn2_b64 vcc, exec, s[46:47]
	s_cbranch_vccnz .LBB11_13
; %bb.53:                               ;   in Loop: Header=BB11_14 Depth=1
	v_lshlrev_b64 v[20:21], 4, v[22:23]
	v_add_co_u32_e32 v20, vcc, v38, v20
	v_addc_co_u32_e32 v21, vcc, v39, v21, vcc
	global_store_dwordx4 v[20:21], v[0:3], off
	s_branch .LBB11_13
.LBB11_54:
	s_endpgm
	.section	.rodata,"a",@progbits
	.p2align	6, 0x0
	.amdhsa_kernel _ZN9rocsparseL29bsrmm_general_blockdim_kernelILj32ELj32Ell21rocsparse_complex_numIdES2_S2_S2_EEvb20rocsparse_direction_T2_S4_llNS_24const_host_device_scalarIT6_EEPKT1_PKS4_PKT3_S4_PKT4_llS7_PT5_ll16rocsparse_order_21rocsparse_index_base_b
		.amdhsa_group_segment_fixed_size 32768
		.amdhsa_private_segment_fixed_size 24
		.amdhsa_kernarg_size 164
		.amdhsa_user_sgpr_count 8
		.amdhsa_user_sgpr_private_segment_buffer 1
		.amdhsa_user_sgpr_dispatch_ptr 0
		.amdhsa_user_sgpr_queue_ptr 0
		.amdhsa_user_sgpr_kernarg_segment_ptr 1
		.amdhsa_user_sgpr_dispatch_id 0
		.amdhsa_user_sgpr_flat_scratch_init 1
		.amdhsa_user_sgpr_kernarg_preload_length 0
		.amdhsa_user_sgpr_kernarg_preload_offset 0
		.amdhsa_user_sgpr_private_segment_size 0
		.amdhsa_uses_dynamic_stack 0
		.amdhsa_system_sgpr_private_segment_wavefront_offset 1
		.amdhsa_system_sgpr_workgroup_id_x 1
		.amdhsa_system_sgpr_workgroup_id_y 1
		.amdhsa_system_sgpr_workgroup_id_z 0
		.amdhsa_system_sgpr_workgroup_info 0
		.amdhsa_system_vgpr_workitem_id 1
		.amdhsa_next_free_vgpr 68
		.amdhsa_next_free_sgpr 64
		.amdhsa_accum_offset 68
		.amdhsa_reserve_vcc 1
		.amdhsa_reserve_flat_scratch 1
		.amdhsa_float_round_mode_32 0
		.amdhsa_float_round_mode_16_64 0
		.amdhsa_float_denorm_mode_32 3
		.amdhsa_float_denorm_mode_16_64 3
		.amdhsa_dx10_clamp 1
		.amdhsa_ieee_mode 1
		.amdhsa_fp16_overflow 0
		.amdhsa_tg_split 0
		.amdhsa_exception_fp_ieee_invalid_op 0
		.amdhsa_exception_fp_denorm_src 0
		.amdhsa_exception_fp_ieee_div_zero 0
		.amdhsa_exception_fp_ieee_overflow 0
		.amdhsa_exception_fp_ieee_underflow 0
		.amdhsa_exception_fp_ieee_inexact 0
		.amdhsa_exception_int_div_zero 0
	.end_amdhsa_kernel
	.section	.text._ZN9rocsparseL29bsrmm_general_blockdim_kernelILj32ELj32Ell21rocsparse_complex_numIdES2_S2_S2_EEvb20rocsparse_direction_T2_S4_llNS_24const_host_device_scalarIT6_EEPKT1_PKS4_PKT3_S4_PKT4_llS7_PT5_ll16rocsparse_order_21rocsparse_index_base_b,"axG",@progbits,_ZN9rocsparseL29bsrmm_general_blockdim_kernelILj32ELj32Ell21rocsparse_complex_numIdES2_S2_S2_EEvb20rocsparse_direction_T2_S4_llNS_24const_host_device_scalarIT6_EEPKT1_PKS4_PKT3_S4_PKT4_llS7_PT5_ll16rocsparse_order_21rocsparse_index_base_b,comdat
.Lfunc_end11:
	.size	_ZN9rocsparseL29bsrmm_general_blockdim_kernelILj32ELj32Ell21rocsparse_complex_numIdES2_S2_S2_EEvb20rocsparse_direction_T2_S4_llNS_24const_host_device_scalarIT6_EEPKT1_PKS4_PKT3_S4_PKT4_llS7_PT5_ll16rocsparse_order_21rocsparse_index_base_b, .Lfunc_end11-_ZN9rocsparseL29bsrmm_general_blockdim_kernelILj32ELj32Ell21rocsparse_complex_numIdES2_S2_S2_EEvb20rocsparse_direction_T2_S4_llNS_24const_host_device_scalarIT6_EEPKT1_PKS4_PKT3_S4_PKT4_llS7_PT5_ll16rocsparse_order_21rocsparse_index_base_b
                                        ; -- End function
	.section	.AMDGPU.csdata,"",@progbits
; Kernel info:
; codeLenInByte = 3512
; NumSgprs: 70
; NumVgprs: 68
; NumAgprs: 0
; TotalNumVgprs: 68
; ScratchSize: 24
; MemoryBound: 1
; FloatMode: 240
; IeeeMode: 1
; LDSByteSize: 32768 bytes/workgroup (compile time only)
; SGPRBlocks: 8
; VGPRBlocks: 8
; NumSGPRsForWavesPerEU: 70
; NumVGPRsForWavesPerEU: 68
; AccumOffset: 68
; Occupancy: 7
; WaveLimiterHint : 1
; COMPUTE_PGM_RSRC2:SCRATCH_EN: 1
; COMPUTE_PGM_RSRC2:USER_SGPR: 8
; COMPUTE_PGM_RSRC2:TRAP_HANDLER: 0
; COMPUTE_PGM_RSRC2:TGID_X_EN: 1
; COMPUTE_PGM_RSRC2:TGID_Y_EN: 1
; COMPUTE_PGM_RSRC2:TGID_Z_EN: 0
; COMPUTE_PGM_RSRC2:TIDIG_COMP_CNT: 1
; COMPUTE_PGM_RSRC3_GFX90A:ACCUM_OFFSET: 16
; COMPUTE_PGM_RSRC3_GFX90A:TG_SPLIT: 0
	.section	.text._ZN9rocsparseL29bsrmm_general_blockdim_kernelILj32ELj32EiiDF16_DF16_ffEEvb20rocsparse_direction_T2_S2_llNS_24const_host_device_scalarIT6_EEPKT1_PKS2_PKT3_S2_PKT4_llS5_PT5_ll16rocsparse_order_21rocsparse_index_base_b,"axG",@progbits,_ZN9rocsparseL29bsrmm_general_blockdim_kernelILj32ELj32EiiDF16_DF16_ffEEvb20rocsparse_direction_T2_S2_llNS_24const_host_device_scalarIT6_EEPKT1_PKS2_PKT3_S2_PKT4_llS5_PT5_ll16rocsparse_order_21rocsparse_index_base_b,comdat
	.globl	_ZN9rocsparseL29bsrmm_general_blockdim_kernelILj32ELj32EiiDF16_DF16_ffEEvb20rocsparse_direction_T2_S2_llNS_24const_host_device_scalarIT6_EEPKT1_PKS2_PKT3_S2_PKT4_llS5_PT5_ll16rocsparse_order_21rocsparse_index_base_b ; -- Begin function _ZN9rocsparseL29bsrmm_general_blockdim_kernelILj32ELj32EiiDF16_DF16_ffEEvb20rocsparse_direction_T2_S2_llNS_24const_host_device_scalarIT6_EEPKT1_PKS2_PKT3_S2_PKT4_llS5_PT5_ll16rocsparse_order_21rocsparse_index_base_b
	.p2align	8
	.type	_ZN9rocsparseL29bsrmm_general_blockdim_kernelILj32ELj32EiiDF16_DF16_ffEEvb20rocsparse_direction_T2_S2_llNS_24const_host_device_scalarIT6_EEPKT1_PKS2_PKT3_S2_PKT4_llS5_PT5_ll16rocsparse_order_21rocsparse_index_base_b,@function
_ZN9rocsparseL29bsrmm_general_blockdim_kernelILj32ELj32EiiDF16_DF16_ffEEvb20rocsparse_direction_T2_S2_llNS_24const_host_device_scalarIT6_EEPKT1_PKS2_PKT3_S2_PKT4_llS5_PT5_ll16rocsparse_order_21rocsparse_index_base_b: ; @_ZN9rocsparseL29bsrmm_general_blockdim_kernelILj32ELj32EiiDF16_DF16_ffEEvb20rocsparse_direction_T2_S2_llNS_24const_host_device_scalarIT6_EEPKT1_PKS2_PKT3_S2_PKT4_llS5_PT5_ll16rocsparse_order_21rocsparse_index_base_b
; %bb.0:
	s_load_dwordx4 s[8:11], s[4:5], 0x80
	s_mov_b32 s0, s7
	s_waitcnt lgkmcnt(0)
	s_bitcmp1_b32 s10, 0
	s_load_dwordx2 s[10:11], s[4:5], 0x20
	s_load_dwordx2 s[28:29], s[4:5], 0x60
	s_cselect_b64 s[12:13], -1, 0
	s_xor_b64 s[2:3], s[12:13], -1
	s_and_b64 vcc, exec, s[12:13]
	s_cbranch_vccnz .LBB12_2
; %bb.1:
	s_waitcnt lgkmcnt(0)
	s_load_dword s10, s[10:11], 0x0
.LBB12_2:
	s_andn2_b64 vcc, exec, s[2:3]
	s_cbranch_vccnz .LBB12_4
; %bb.3:
	s_waitcnt lgkmcnt(0)
	s_load_dword s28, s[28:29], 0x0
.LBB12_4:
	s_waitcnt lgkmcnt(0)
	v_cmp_eq_f32_e64 s[2:3], s10, 0
	v_cmp_eq_f32_e64 s[12:13], s28, 1.0
	s_and_b64 s[2:3], s[2:3], s[12:13]
	s_mov_b32 s11, 0
	s_and_b64 vcc, exec, s[2:3]
	s_cbranch_vccnz .LBB12_57
; %bb.5:
	s_load_dwordx4 s[24:27], s[4:5], 0x0
	s_load_dwordx2 s[12:13], s[4:5], 0x28
	s_waitcnt lgkmcnt(0)
	s_cmp_lt_i32 s6, s26
	s_cselect_b64 s[2:3], -1, 0
	s_cmp_ge_i32 s6, s26
	s_cbranch_scc0 .LBB12_8
; %bb.6:
	s_andn2_b64 vcc, exec, s[2:3]
	s_mov_b32 s29, 0
	s_cbranch_vccz .LBB12_9
.LBB12_7:
	s_load_dword s33, s[4:5], 0x40
	s_waitcnt lgkmcnt(0)
	s_cmp_lt_i32 s33, 1
	s_cbranch_scc0 .LBB12_10
	s_branch .LBB12_57
.LBB12_8:
	s_ashr_i32 s7, s6, 31
	s_lshl_b64 s[14:15], s[6:7], 2
	s_add_u32 s14, s12, s14
	s_addc_u32 s15, s13, s15
	s_load_dword s1, s[14:15], 0x0
	s_waitcnt lgkmcnt(0)
	s_sub_i32 s11, s1, s9
	s_andn2_b64 vcc, exec, s[2:3]
	s_mov_b32 s29, 0
	s_cbranch_vccnz .LBB12_7
.LBB12_9:
	s_ashr_i32 s7, s6, 31
	s_lshl_b64 s[14:15], s[6:7], 2
	s_add_u32 s12, s12, s14
	s_addc_u32 s13, s13, s15
	s_load_dword s1, s[12:13], 0x4
	s_waitcnt lgkmcnt(0)
	s_sub_i32 s29, s1, s9
	s_load_dword s33, s[4:5], 0x40
	s_waitcnt lgkmcnt(0)
	s_cmp_lt_i32 s33, 1
	s_cbranch_scc1 .LBB12_57
.LBB12_10:
	s_load_dwordx4 s[12:15], s[4:5], 0x68
	s_load_dwordx4 s[16:19], s[4:5], 0x30
	;; [unrolled: 1-line block ×3, first 2 shown]
	v_and_b32_e32 v1, 0x3ff, v0
	v_bfe_u32 v0, v0, 10, 10
	v_lshl_add_u32 v2, s0, 5, v0
	v_ashrrev_i32_e32 v3, 31, v2
	v_lshlrev_b64 v[4:5], 1, v[2:3]
	s_waitcnt lgkmcnt(0)
	v_mov_b32_e32 v6, s21
	v_add_co_u32_e32 v8, vcc, s20, v4
	v_lshlrev_b32_e32 v4, 5, v0
	s_mul_i32 s42, s6, s33
	v_addc_co_u32_e32 v9, vcc, v6, v5, vcc
	v_add_lshl_u32 v10, v4, v1, 2
	v_mul_lo_u32 v7, v3, s22
	v_mul_lo_u32 v12, v2, s23
	v_mad_u64_u32 v[4:5], s[6:7], v2, s22, 0
	s_bitcmp1_b32 s24, 0
	v_add3_u32 v5, v5, v12, v7
	s_cselect_b64 s[4:5], -1, 0
	v_lshlrev_b64 v[4:5], 1, v[4:5]
	s_xor_b64 s[30:31], s[4:5], -1
	v_add_co_u32_e32 v12, vcc, s20, v4
	s_cmp_lt_i32 s11, s29
	v_addc_co_u32_e32 v13, vcc, v6, v5, vcc
	v_lshlrev_b64 v[4:5], 2, v[2:3]
	s_cselect_b64 s[4:5], -1, 0
	v_cmp_gt_i32_e64 s[0:1], s27, v2
	s_cmp_lg_u32 s25, 0
	v_mov_b32_e32 v6, s13
	v_add_co_u32_e32 v14, vcc, s12, v4
	s_cselect_b64 s[6:7], -1, 0
	s_and_b64 s[20:21], s[2:3], s[0:1]
	v_addc_co_u32_e32 v15, vcc, v6, v5, vcc
	v_mul_lo_u32 v4, v3, s14
	v_mul_lo_u32 v5, v2, s15
	v_mad_u64_u32 v[2:3], s[2:3], v2, s14, 0
	v_add3_u32 v3, v3, v5, v4
	v_lshlrev_b64 v[2:3], 2, v[2:3]
	v_add_co_u32_e32 v16, vcc, s12, v2
	v_mov_b32_e32 v2, 0x1000
	s_mul_i32 s2, s11, s33
	v_lshl_add_u32 v19, v0, 7, v2
	v_add_u32_e32 v2, s2, v1
	v_addc_co_u32_e32 v17, vcc, v6, v3, vcc
	v_mad_u64_u32 v[2:3], s[2:3], s33, v2, v[0:1]
	s_cmp_lg_u32 s8, 1
	v_cndmask_b32_e64 v3, 0, 1, s[4:5]
	v_add_u32_e32 v11, 0x1000, v10
	s_mov_b32 s43, 0
	v_cmp_neq_f32_e64 s[24:25], s28, 0
	s_cselect_b64 s[26:27], -1, 0
	v_lshlrev_b32_e32 v18, 2, v1
	s_lshl_b32 s8, s33, 5
	s_mul_i32 s44, s33, s33
	v_cmp_ne_u32_e64 s[2:3], 1, v3
	s_branch .LBB12_12
.LBB12_11:                              ;   in Loop: Header=BB12_12 Depth=1
	s_or_b64 exec, exec, s[4:5]
	s_add_i32 s43, s43, 32
	s_cmp_lt_i32 s43, s33
	v_add_u32_e32 v2, s8, v2
	s_cbranch_scc0 .LBB12_57
.LBB12_12:                              ; =>This Loop Header: Depth=1
                                        ;     Child Loop BB12_15 Depth 2
                                        ;       Child Loop BB12_17 Depth 3
	v_add_u32_e32 v4, s43, v1
	s_and_b64 vcc, exec, s[2:3]
	v_mov_b32_e32 v3, 0
	v_cmp_gt_i32_e64 s[4:5], s33, v4
	s_cbranch_vccnz .LBB12_45
; %bb.13:                               ;   in Loop: Header=BB12_12 Depth=1
	v_mov_b32_e32 v3, 0
	v_mov_b32_e32 v5, v2
	s_mov_b32 s12, s11
	s_branch .LBB12_15
.LBB12_14:                              ;   in Loop: Header=BB12_15 Depth=2
	s_add_i32 s12, s12, 1
	s_cmp_ge_i32 s12, s29
	v_add_u32_e32 v5, s44, v5
	s_cbranch_scc1 .LBB12_45
.LBB12_15:                              ;   Parent Loop BB12_12 Depth=1
                                        ; =>  This Loop Header: Depth=2
                                        ;       Child Loop BB12_17 Depth 3
	s_ashr_i32 s13, s12, 31
	s_lshl_b64 s[34:35], s[12:13], 2
	s_add_u32 s34, s16, s34
	s_addc_u32 s35, s17, s35
	s_load_dword s34, s[34:35], 0x0
	s_mul_i32 s13, s12, s33
	s_mov_b32 s45, 0
	s_waitcnt lgkmcnt(0)
	s_sub_i32 s34, s34, s9
	s_mul_i32 s34, s34, s33
	v_add_u32_e32 v20, s34, v1
	s_branch .LBB12_17
.LBB12_16:                              ;   in Loop: Header=BB12_17 Depth=3
	s_or_b64 exec, exec, s[36:37]
	ds_write_b32 v10, v7
	s_waitcnt lgkmcnt(0)
	s_barrier
	ds_read2_b32 v[6:7], v18 offset1:32
	ds_read_b128 v[22:25], v19
	ds_read_b128 v[26:29], v19 offset:16
	ds_read2_b32 v[38:39], v18 offset0:64 offset1:96
	ds_read_b128 v[30:33], v19 offset:32
	ds_read_b128 v[34:37], v19 offset:48
	ds_read2_b32 v[40:41], v18 offset0:128 offset1:160
	s_waitcnt lgkmcnt(5)
	v_fmac_f32_e32 v3, v6, v22
	v_fmac_f32_e32 v3, v7, v23
	ds_read2_b32 v[6:7], v18 offset0:192 offset1:224
	s_waitcnt lgkmcnt(4)
	v_fmac_f32_e32 v3, v38, v24
	v_fmac_f32_e32 v3, v39, v25
	s_waitcnt lgkmcnt(1)
	v_fmac_f32_e32 v3, v40, v26
	v_add_u32_e32 v21, 0x400, v18
	ds_read2_b32 v[22:23], v21 offset1:32
	v_fmac_f32_e32 v3, v41, v27
	s_waitcnt lgkmcnt(1)
	v_fmac_f32_e32 v3, v6, v28
	v_fmac_f32_e32 v3, v7, v29
	ds_read2_b32 v[6:7], v21 offset0:64 offset1:96
	ds_read2_b32 v[24:25], v21 offset0:128 offset1:160
	s_waitcnt lgkmcnt(2)
	v_fmac_f32_e32 v3, v22, v30
	v_fmac_f32_e32 v3, v23, v31
	ds_read2_b32 v[26:27], v21 offset0:192 offset1:224
	s_waitcnt lgkmcnt(2)
	v_fmac_f32_e32 v3, v6, v32
	v_fmac_f32_e32 v3, v7, v33
	s_waitcnt lgkmcnt(1)
	v_fmac_f32_e32 v3, v24, v34
	v_add_u32_e32 v21, 0x800, v18
	v_fmac_f32_e32 v3, v25, v35
	ds_read2_b32 v[6:7], v21 offset1:32
	ds_read_b128 v[22:25], v19 offset:64
	s_waitcnt lgkmcnt(2)
	v_fmac_f32_e32 v3, v26, v36
	v_fmac_f32_e32 v3, v27, v37
	ds_read2_b32 v[30:31], v21 offset0:64 offset1:96
	ds_read2_b32 v[32:33], v21 offset0:128 offset1:160
	ds_read_b128 v[26:29], v19 offset:80
	s_add_i32 s45, s45, 32
	s_waitcnt lgkmcnt(3)
	v_fmac_f32_e32 v3, v6, v22
	v_fmac_f32_e32 v3, v7, v23
	ds_read2_b32 v[6:7], v21 offset0:192 offset1:224
	s_waitcnt lgkmcnt(3)
	v_fmac_f32_e32 v3, v30, v24
	v_fmac_f32_e32 v3, v31, v25
	v_add_u32_e32 v21, 0xc00, v18
	s_waitcnt lgkmcnt(1)
	v_fmac_f32_e32 v3, v32, v26
	ds_read2_b32 v[30:31], v21 offset1:32
	ds_read_b128 v[22:25], v19 offset:96
	v_fmac_f32_e32 v3, v33, v27
	s_waitcnt lgkmcnt(2)
	v_fmac_f32_e32 v3, v6, v28
	v_fmac_f32_e32 v3, v7, v29
	ds_read2_b32 v[6:7], v21 offset0:64 offset1:96
	ds_read_b128 v[26:29], v19 offset:112
	ds_read2_b32 v[32:33], v21 offset0:128 offset1:160
	s_waitcnt lgkmcnt(3)
	v_fmac_f32_e32 v3, v30, v22
	v_fmac_f32_e32 v3, v31, v23
	ds_read2_b32 v[22:23], v21 offset0:192 offset1:224
	s_waitcnt lgkmcnt(3)
	v_fmac_f32_e32 v3, v6, v24
	v_fmac_f32_e32 v3, v7, v25
	s_waitcnt lgkmcnt(1)
	v_fmac_f32_e32 v3, v32, v26
	v_fmac_f32_e32 v3, v33, v27
	;; [unrolled: 3-line block ×3, first 2 shown]
	s_cmp_ge_i32 s45, s33
	s_barrier
	s_cbranch_scc1 .LBB12_14
.LBB12_17:                              ;   Parent Loop BB12_12 Depth=1
                                        ;     Parent Loop BB12_15 Depth=2
                                        ; =>    This Inner Loop Header: Depth=3
	s_and_b64 vcc, exec, s[30:31]
	s_cbranch_vccz .LBB12_23
; %bb.18:                               ;   in Loop: Header=BB12_17 Depth=3
	s_mov_b64 s[36:37], 0
	s_mov_b64 s[34:35], 0
                                        ; implicit-def: $vgpr6_vgpr7
	s_and_saveexec_b64 s[38:39], s[0:1]
	s_cbranch_execz .LBB12_22
; %bb.19:                               ;   in Loop: Header=BB12_17 Depth=3
	v_add_u32_e32 v6, s45, v1
	v_cmp_gt_i32_e32 vcc, s33, v6
                                        ; implicit-def: $vgpr6_vgpr7
	s_and_saveexec_b64 s[40:41], vcc
	s_xor_b64 s[40:41], exec, s[40:41]
; %bb.20:                               ;   in Loop: Header=BB12_17 Depth=3
	v_add_u32_e32 v6, s45, v20
	v_ashrrev_i32_e32 v7, 31, v6
	v_mul_lo_u32 v21, v7, s22
	v_mul_lo_u32 v22, v6, s23
	v_mad_u64_u32 v[6:7], s[46:47], v6, s22, 0
	v_add3_u32 v7, v7, v22, v21
	v_lshlrev_b64 v[6:7], 1, v[6:7]
	v_add_co_u32_e32 v6, vcc, v8, v6
	s_mov_b64 s[34:35], exec
	v_addc_co_u32_e32 v7, vcc, v9, v7, vcc
; %bb.21:                               ;   in Loop: Header=BB12_17 Depth=3
	s_or_b64 exec, exec, s[40:41]
	s_and_b64 s[34:35], s[34:35], exec
.LBB12_22:                              ;   in Loop: Header=BB12_17 Depth=3
	s_or_b64 exec, exec, s[38:39]
	s_mov_b32 s38, 0
	s_and_b64 vcc, exec, s[36:37]
	s_cbranch_vccnz .LBB12_24
	s_branch .LBB12_29
.LBB12_23:                              ;   in Loop: Header=BB12_17 Depth=3
	s_mov_b64 s[34:35], 0
                                        ; implicit-def: $vgpr6_vgpr7
                                        ; implicit-def: $sgpr38
	s_cbranch_execz .LBB12_29
.LBB12_24:                              ;   in Loop: Header=BB12_17 Depth=3
                                        ; implicit-def: $vgpr6_vgpr7
	s_and_saveexec_b64 s[36:37], s[0:1]
	s_cbranch_execz .LBB12_28
; %bb.25:                               ;   in Loop: Header=BB12_17 Depth=3
	v_add_u32_e32 v6, s45, v1
	v_cmp_gt_i32_e32 vcc, s33, v6
	s_mov_b64 s[40:41], s[34:35]
                                        ; implicit-def: $vgpr6_vgpr7
	s_and_saveexec_b64 s[38:39], vcc
; %bb.26:                               ;   in Loop: Header=BB12_17 Depth=3
	v_add_u32_e32 v6, s45, v20
	v_ashrrev_i32_e32 v7, 31, v6
	v_lshlrev_b64 v[6:7], 1, v[6:7]
	v_add_co_u32_e32 v6, vcc, v12, v6
	v_addc_co_u32_e32 v7, vcc, v13, v7, vcc
	s_or_b64 s[40:41], s[34:35], exec
; %bb.27:                               ;   in Loop: Header=BB12_17 Depth=3
	s_or_b64 exec, exec, s[38:39]
	s_andn2_b64 s[34:35], s[34:35], exec
	s_and_b64 s[38:39], s[40:41], exec
	s_or_b64 s[34:35], s[34:35], s[38:39]
.LBB12_28:                              ;   in Loop: Header=BB12_17 Depth=3
	s_or_b64 exec, exec, s[36:37]
	s_mov_b32 s38, 0
.LBB12_29:                              ;   in Loop: Header=BB12_17 Depth=3
	v_mov_b32_e32 v21, s38
	s_and_saveexec_b64 s[36:37], s[34:35]
	s_cbranch_execnz .LBB12_37
; %bb.30:                               ;   in Loop: Header=BB12_17 Depth=3
	s_or_b64 exec, exec, s[36:37]
	s_and_b64 vcc, exec, s[6:7]
	ds_write_b32 v11, v21
	s_cbranch_vccz .LBB12_38
.LBB12_31:                              ;   in Loop: Header=BB12_17 Depth=3
	s_mov_b64 s[36:37], 0
	s_mov_b64 s[34:35], 0
                                        ; implicit-def: $vgpr6
	s_and_saveexec_b64 s[38:39], s[4:5]
	s_cbranch_execz .LBB12_35
; %bb.32:                               ;   in Loop: Header=BB12_17 Depth=3
	v_add_u32_e32 v7, s45, v0
	v_cmp_gt_i32_e32 vcc, s33, v7
                                        ; implicit-def: $vgpr6
	s_and_saveexec_b64 s[40:41], vcc
	s_xor_b64 s[40:41], exec, s[40:41]
; %bb.33:                               ;   in Loop: Header=BB12_17 Depth=3
	v_add_u32_e32 v6, s13, v7
	s_mov_b64 s[34:35], exec
	v_mad_u64_u32 v[6:7], s[46:47], v6, s33, v[4:5]
; %bb.34:                               ;   in Loop: Header=BB12_17 Depth=3
	s_or_b64 exec, exec, s[40:41]
	s_and_b64 s[34:35], s[34:35], exec
.LBB12_35:                              ;   in Loop: Header=BB12_17 Depth=3
	s_or_b64 exec, exec, s[38:39]
	s_mov_b32 s38, 0
	s_and_b64 vcc, exec, s[36:37]
	s_cbranch_vccnz .LBB12_39
.LBB12_36:                              ;   in Loop: Header=BB12_17 Depth=3
	v_mov_b32_e32 v7, s38
	s_and_saveexec_b64 s[36:37], s[34:35]
	s_cbranch_execz .LBB12_16
	s_branch .LBB12_44
.LBB12_37:                              ;   in Loop: Header=BB12_17 Depth=3
	global_load_ushort v6, v[6:7], off
	s_waitcnt vmcnt(0)
	v_cvt_f32_f16_e32 v21, v6
	s_or_b64 exec, exec, s[36:37]
	s_and_b64 vcc, exec, s[6:7]
	ds_write_b32 v11, v21
	s_cbranch_vccnz .LBB12_31
.LBB12_38:                              ;   in Loop: Header=BB12_17 Depth=3
	s_mov_b64 s[34:35], 0
                                        ; implicit-def: $vgpr6
                                        ; implicit-def: $sgpr38
	s_cbranch_execz .LBB12_36
.LBB12_39:                              ;   in Loop: Header=BB12_17 Depth=3
                                        ; implicit-def: $vgpr6
	s_and_saveexec_b64 s[36:37], s[4:5]
	s_cbranch_execz .LBB12_43
; %bb.40:                               ;   in Loop: Header=BB12_17 Depth=3
	v_add_u32_e32 v6, s45, v0
	v_cmp_gt_i32_e32 vcc, s33, v6
	s_mov_b64 s[38:39], s[34:35]
                                        ; implicit-def: $vgpr6
	s_and_saveexec_b64 s[40:41], vcc
; %bb.41:                               ;   in Loop: Header=BB12_17 Depth=3
	v_add_u32_e32 v6, s45, v5
	s_or_b64 s[38:39], s[34:35], exec
; %bb.42:                               ;   in Loop: Header=BB12_17 Depth=3
	s_or_b64 exec, exec, s[40:41]
	s_andn2_b64 s[34:35], s[34:35], exec
	s_and_b64 s[38:39], s[38:39], exec
	s_or_b64 s[34:35], s[34:35], s[38:39]
.LBB12_43:                              ;   in Loop: Header=BB12_17 Depth=3
	s_or_b64 exec, exec, s[36:37]
	s_mov_b32 s38, 0
	v_mov_b32_e32 v7, s38
	s_and_saveexec_b64 s[36:37], s[34:35]
	s_cbranch_execz .LBB12_16
.LBB12_44:                              ;   in Loop: Header=BB12_17 Depth=3
	v_ashrrev_i32_e32 v7, 31, v6
	v_lshlrev_b64 v[6:7], 1, v[6:7]
	v_mov_b32_e32 v21, s19
	v_add_co_u32_e32 v6, vcc, s18, v6
	v_addc_co_u32_e32 v7, vcc, v21, v7, vcc
	global_load_ushort v6, v[6:7], off
	s_waitcnt vmcnt(0)
	v_cvt_f32_f16_e32 v7, v6
	s_branch .LBB12_16
.LBB12_45:                              ;   in Loop: Header=BB12_12 Depth=1
	v_cmp_gt_i32_e32 vcc, s33, v4
	s_and_b64 s[12:13], s[20:21], vcc
	s_and_saveexec_b64 s[4:5], s[12:13]
	s_cbranch_execz .LBB12_11
; %bb.46:                               ;   in Loop: Header=BB12_12 Depth=1
	v_add_u32_e32 v4, s42, v4
	s_and_b64 vcc, exec, s[24:25]
	v_ashrrev_i32_e32 v5, 31, v4
	s_mov_b64 s[12:13], -1
	s_cbranch_vccz .LBB12_52
; %bb.47:                               ;   in Loop: Header=BB12_12 Depth=1
	s_and_b64 vcc, exec, s[26:27]
	s_cbranch_vccz .LBB12_49
; %bb.48:                               ;   in Loop: Header=BB12_12 Depth=1
	v_mul_lo_u32 v20, v5, s14
	v_mul_lo_u32 v21, v4, s15
	v_mad_u64_u32 v[6:7], s[12:13], v4, s14, 0
	v_add3_u32 v7, v7, v21, v20
	v_lshlrev_b64 v[6:7], 2, v[6:7]
	v_add_co_u32_e32 v6, vcc, v14, v6
	v_addc_co_u32_e32 v7, vcc, v15, v7, vcc
	global_load_dword v20, v[6:7], off
	v_mul_f32_e32 v21, s10, v3
	s_mov_b64 s[12:13], 0
	s_waitcnt vmcnt(0)
	v_fmac_f32_e32 v21, s28, v20
	global_store_dword v[6:7], v21, off
.LBB12_49:                              ;   in Loop: Header=BB12_12 Depth=1
	s_andn2_b64 vcc, exec, s[12:13]
	s_cbranch_vccnz .LBB12_51
; %bb.50:                               ;   in Loop: Header=BB12_12 Depth=1
	v_lshlrev_b64 v[6:7], 2, v[4:5]
	v_add_co_u32_e32 v6, vcc, v16, v6
	v_addc_co_u32_e32 v7, vcc, v17, v7, vcc
	global_load_dword v20, v[6:7], off
	v_mul_f32_e32 v21, s10, v3
	s_waitcnt vmcnt(0)
	v_fmac_f32_e32 v21, s28, v20
	global_store_dword v[6:7], v21, off
.LBB12_51:                              ;   in Loop: Header=BB12_12 Depth=1
	s_mov_b64 s[12:13], 0
.LBB12_52:                              ;   in Loop: Header=BB12_12 Depth=1
	s_andn2_b64 vcc, exec, s[12:13]
	s_cbranch_vccnz .LBB12_11
; %bb.53:                               ;   in Loop: Header=BB12_12 Depth=1
	v_mul_f32_e32 v3, s10, v3
	s_mov_b64 s[12:13], -1
	s_and_b64 vcc, exec, s[26:27]
	s_cbranch_vccz .LBB12_55
; %bb.54:                               ;   in Loop: Header=BB12_12 Depth=1
	v_mul_lo_u32 v20, v5, s14
	v_mul_lo_u32 v21, v4, s15
	v_mad_u64_u32 v[6:7], s[12:13], v4, s14, 0
	v_add3_u32 v7, v7, v21, v20
	v_lshlrev_b64 v[6:7], 2, v[6:7]
	v_add_co_u32_e32 v6, vcc, v14, v6
	v_addc_co_u32_e32 v7, vcc, v15, v7, vcc
	global_store_dword v[6:7], v3, off
	s_mov_b64 s[12:13], 0
.LBB12_55:                              ;   in Loop: Header=BB12_12 Depth=1
	s_andn2_b64 vcc, exec, s[12:13]
	s_cbranch_vccnz .LBB12_11
; %bb.56:                               ;   in Loop: Header=BB12_12 Depth=1
	v_lshlrev_b64 v[4:5], 2, v[4:5]
	v_add_co_u32_e32 v4, vcc, v16, v4
	v_addc_co_u32_e32 v5, vcc, v17, v5, vcc
	global_store_dword v[4:5], v3, off
	s_branch .LBB12_11
.LBB12_57:
	s_endpgm
	.section	.rodata,"a",@progbits
	.p2align	6, 0x0
	.amdhsa_kernel _ZN9rocsparseL29bsrmm_general_blockdim_kernelILj32ELj32EiiDF16_DF16_ffEEvb20rocsparse_direction_T2_S2_llNS_24const_host_device_scalarIT6_EEPKT1_PKS2_PKT3_S2_PKT4_llS5_PT5_ll16rocsparse_order_21rocsparse_index_base_b
		.amdhsa_group_segment_fixed_size 8192
		.amdhsa_private_segment_fixed_size 0
		.amdhsa_kernarg_size 140
		.amdhsa_user_sgpr_count 6
		.amdhsa_user_sgpr_private_segment_buffer 1
		.amdhsa_user_sgpr_dispatch_ptr 0
		.amdhsa_user_sgpr_queue_ptr 0
		.amdhsa_user_sgpr_kernarg_segment_ptr 1
		.amdhsa_user_sgpr_dispatch_id 0
		.amdhsa_user_sgpr_flat_scratch_init 0
		.amdhsa_user_sgpr_kernarg_preload_length 0
		.amdhsa_user_sgpr_kernarg_preload_offset 0
		.amdhsa_user_sgpr_private_segment_size 0
		.amdhsa_uses_dynamic_stack 0
		.amdhsa_system_sgpr_private_segment_wavefront_offset 0
		.amdhsa_system_sgpr_workgroup_id_x 1
		.amdhsa_system_sgpr_workgroup_id_y 1
		.amdhsa_system_sgpr_workgroup_id_z 0
		.amdhsa_system_sgpr_workgroup_info 0
		.amdhsa_system_vgpr_workitem_id 1
		.amdhsa_next_free_vgpr 42
		.amdhsa_next_free_sgpr 48
		.amdhsa_accum_offset 44
		.amdhsa_reserve_vcc 1
		.amdhsa_reserve_flat_scratch 0
		.amdhsa_float_round_mode_32 0
		.amdhsa_float_round_mode_16_64 0
		.amdhsa_float_denorm_mode_32 3
		.amdhsa_float_denorm_mode_16_64 3
		.amdhsa_dx10_clamp 1
		.amdhsa_ieee_mode 1
		.amdhsa_fp16_overflow 0
		.amdhsa_tg_split 0
		.amdhsa_exception_fp_ieee_invalid_op 0
		.amdhsa_exception_fp_denorm_src 0
		.amdhsa_exception_fp_ieee_div_zero 0
		.amdhsa_exception_fp_ieee_overflow 0
		.amdhsa_exception_fp_ieee_underflow 0
		.amdhsa_exception_fp_ieee_inexact 0
		.amdhsa_exception_int_div_zero 0
	.end_amdhsa_kernel
	.section	.text._ZN9rocsparseL29bsrmm_general_blockdim_kernelILj32ELj32EiiDF16_DF16_ffEEvb20rocsparse_direction_T2_S2_llNS_24const_host_device_scalarIT6_EEPKT1_PKS2_PKT3_S2_PKT4_llS5_PT5_ll16rocsparse_order_21rocsparse_index_base_b,"axG",@progbits,_ZN9rocsparseL29bsrmm_general_blockdim_kernelILj32ELj32EiiDF16_DF16_ffEEvb20rocsparse_direction_T2_S2_llNS_24const_host_device_scalarIT6_EEPKT1_PKS2_PKT3_S2_PKT4_llS5_PT5_ll16rocsparse_order_21rocsparse_index_base_b,comdat
.Lfunc_end12:
	.size	_ZN9rocsparseL29bsrmm_general_blockdim_kernelILj32ELj32EiiDF16_DF16_ffEEvb20rocsparse_direction_T2_S2_llNS_24const_host_device_scalarIT6_EEPKT1_PKS2_PKT3_S2_PKT4_llS5_PT5_ll16rocsparse_order_21rocsparse_index_base_b, .Lfunc_end12-_ZN9rocsparseL29bsrmm_general_blockdim_kernelILj32ELj32EiiDF16_DF16_ffEEvb20rocsparse_direction_T2_S2_llNS_24const_host_device_scalarIT6_EEPKT1_PKS2_PKT3_S2_PKT4_llS5_PT5_ll16rocsparse_order_21rocsparse_index_base_b
                                        ; -- End function
	.section	.AMDGPU.csdata,"",@progbits
; Kernel info:
; codeLenInByte = 1992
; NumSgprs: 52
; NumVgprs: 42
; NumAgprs: 0
; TotalNumVgprs: 42
; ScratchSize: 0
; MemoryBound: 0
; FloatMode: 240
; IeeeMode: 1
; LDSByteSize: 8192 bytes/workgroup (compile time only)
; SGPRBlocks: 6
; VGPRBlocks: 5
; NumSGPRsForWavesPerEU: 52
; NumVGPRsForWavesPerEU: 42
; AccumOffset: 44
; Occupancy: 8
; WaveLimiterHint : 0
; COMPUTE_PGM_RSRC2:SCRATCH_EN: 0
; COMPUTE_PGM_RSRC2:USER_SGPR: 6
; COMPUTE_PGM_RSRC2:TRAP_HANDLER: 0
; COMPUTE_PGM_RSRC2:TGID_X_EN: 1
; COMPUTE_PGM_RSRC2:TGID_Y_EN: 1
; COMPUTE_PGM_RSRC2:TGID_Z_EN: 0
; COMPUTE_PGM_RSRC2:TIDIG_COMP_CNT: 1
; COMPUTE_PGM_RSRC3_GFX90A:ACCUM_OFFSET: 10
; COMPUTE_PGM_RSRC3_GFX90A:TG_SPLIT: 0
	.section	.text._ZN9rocsparseL29bsrmm_general_blockdim_kernelILj32ELj32EliDF16_DF16_ffEEvb20rocsparse_direction_T2_S2_llNS_24const_host_device_scalarIT6_EEPKT1_PKS2_PKT3_S2_PKT4_llS5_PT5_ll16rocsparse_order_21rocsparse_index_base_b,"axG",@progbits,_ZN9rocsparseL29bsrmm_general_blockdim_kernelILj32ELj32EliDF16_DF16_ffEEvb20rocsparse_direction_T2_S2_llNS_24const_host_device_scalarIT6_EEPKT1_PKS2_PKT3_S2_PKT4_llS5_PT5_ll16rocsparse_order_21rocsparse_index_base_b,comdat
	.globl	_ZN9rocsparseL29bsrmm_general_blockdim_kernelILj32ELj32EliDF16_DF16_ffEEvb20rocsparse_direction_T2_S2_llNS_24const_host_device_scalarIT6_EEPKT1_PKS2_PKT3_S2_PKT4_llS5_PT5_ll16rocsparse_order_21rocsparse_index_base_b ; -- Begin function _ZN9rocsparseL29bsrmm_general_blockdim_kernelILj32ELj32EliDF16_DF16_ffEEvb20rocsparse_direction_T2_S2_llNS_24const_host_device_scalarIT6_EEPKT1_PKS2_PKT3_S2_PKT4_llS5_PT5_ll16rocsparse_order_21rocsparse_index_base_b
	.p2align	8
	.type	_ZN9rocsparseL29bsrmm_general_blockdim_kernelILj32ELj32EliDF16_DF16_ffEEvb20rocsparse_direction_T2_S2_llNS_24const_host_device_scalarIT6_EEPKT1_PKS2_PKT3_S2_PKT4_llS5_PT5_ll16rocsparse_order_21rocsparse_index_base_b,@function
_ZN9rocsparseL29bsrmm_general_blockdim_kernelILj32ELj32EliDF16_DF16_ffEEvb20rocsparse_direction_T2_S2_llNS_24const_host_device_scalarIT6_EEPKT1_PKS2_PKT3_S2_PKT4_llS5_PT5_ll16rocsparse_order_21rocsparse_index_base_b: ; @_ZN9rocsparseL29bsrmm_general_blockdim_kernelILj32ELj32EliDF16_DF16_ffEEvb20rocsparse_direction_T2_S2_llNS_24const_host_device_scalarIT6_EEPKT1_PKS2_PKT3_S2_PKT4_llS5_PT5_ll16rocsparse_order_21rocsparse_index_base_b
; %bb.0:
	s_load_dwordx4 s[8:11], s[4:5], 0x80
	s_mov_b32 s0, s7
	s_waitcnt lgkmcnt(0)
	s_bitcmp1_b32 s10, 0
	s_load_dwordx2 s[10:11], s[4:5], 0x20
	s_load_dwordx2 s[28:29], s[4:5], 0x60
	s_cselect_b64 s[12:13], -1, 0
	s_xor_b64 s[2:3], s[12:13], -1
	s_and_b64 vcc, exec, s[12:13]
	s_cbranch_vccnz .LBB13_2
; %bb.1:
	s_waitcnt lgkmcnt(0)
	s_load_dword s10, s[10:11], 0x0
.LBB13_2:
	s_andn2_b64 vcc, exec, s[2:3]
	s_cbranch_vccnz .LBB13_4
; %bb.3:
	s_waitcnt lgkmcnt(0)
	s_load_dword s28, s[28:29], 0x0
.LBB13_4:
	s_waitcnt lgkmcnt(0)
	v_cmp_eq_f32_e64 s[2:3], s10, 0
	v_cmp_eq_f32_e64 s[12:13], s28, 1.0
	s_and_b64 s[2:3], s[2:3], s[12:13]
	s_and_b64 vcc, exec, s[2:3]
	s_cbranch_vccnz .LBB13_53
; %bb.5:
	s_load_dwordx4 s[24:27], s[4:5], 0x0
	s_load_dwordx2 s[12:13], s[4:5], 0x28
	s_mov_b64 s[30:31], 0
	s_mov_b64 s[34:35], 0
	s_waitcnt lgkmcnt(0)
	s_cmp_lt_i32 s6, s26
	s_cselect_b64 s[2:3], -1, 0
	s_cmp_ge_i32 s6, s26
	s_cbranch_scc0 .LBB13_8
; %bb.6:
	s_andn2_b64 vcc, exec, s[2:3]
	s_cbranch_vccz .LBB13_9
.LBB13_7:
	s_load_dword s11, s[4:5], 0x40
	s_waitcnt lgkmcnt(0)
	s_cmp_lt_i32 s11, 1
	s_cbranch_scc0 .LBB13_10
	s_branch .LBB13_53
.LBB13_8:
	s_ashr_i32 s7, s6, 31
	s_lshl_b64 s[14:15], s[6:7], 3
	s_add_u32 s14, s12, s14
	s_addc_u32 s15, s13, s15
	s_load_dwordx2 s[14:15], s[14:15], 0x0
	s_waitcnt lgkmcnt(0)
	s_sub_u32 s34, s14, s9
	s_subb_u32 s35, s15, 0
	s_andn2_b64 vcc, exec, s[2:3]
	s_cbranch_vccnz .LBB13_7
.LBB13_9:
	s_ashr_i32 s7, s6, 31
	s_lshl_b64 s[14:15], s[6:7], 3
	s_add_u32 s12, s12, s14
	s_addc_u32 s13, s13, s15
	s_load_dwordx2 s[12:13], s[12:13], 0x8
	s_waitcnt lgkmcnt(0)
	s_sub_u32 s30, s12, s9
	s_subb_u32 s31, s13, 0
	s_load_dword s11, s[4:5], 0x40
	s_waitcnt lgkmcnt(0)
	s_cmp_lt_i32 s11, 1
	s_cbranch_scc1 .LBB13_53
.LBB13_10:
	s_load_dwordx4 s[12:15], s[4:5], 0x68
	s_load_dwordx4 s[16:19], s[4:5], 0x30
	;; [unrolled: 1-line block ×3, first 2 shown]
	v_bfe_u32 v5, v0, 10, 10
	v_and_b32_e32 v4, 0x3ff, v0
	s_bitcmp1_b32 s24, 0
	v_lshl_add_u32 v0, s0, 5, v5
	s_cselect_b64 s[4:5], -1, 0
	v_ashrrev_i32_e32 v1, 31, v0
	s_xor_b64 s[36:37], s[4:5], -1
	v_lshlrev_b64 v[6:7], 1, v[0:1]
	s_waitcnt lgkmcnt(0)
	v_mul_lo_u32 v13, v1, s22
	v_mul_lo_u32 v14, v0, s23
	v_mad_u64_u32 v[10:11], s[4:5], v0, s22, 0
	v_mov_b32_e32 v12, s21
	v_add_co_u32_e32 v6, vcc, s20, v6
	v_add3_u32 v11, v11, v14, v13
	v_addc_co_u32_e32 v7, vcc, v12, v7, vcc
	v_lshlrev_b64 v[10:11], 1, v[10:11]
	v_cmp_gt_i32_e64 s[0:1], s27, v0
	v_add_co_u32_e32 v10, vcc, s20, v10
	s_cmp_lg_u32 s25, 0
	s_mul_i32 s29, s6, s11
	v_addc_co_u32_e32 v11, vcc, v12, v11, vcc
	s_cselect_b64 s[6:7], -1, 0
	s_and_b64 s[20:21], s[2:3], s[0:1]
	v_lshlrev_b64 v[12:13], 2, v[0:1]
	v_mul_lo_u32 v14, v1, s14
	v_mul_lo_u32 v16, v0, s15
	v_mad_u64_u32 v[0:1], s[2:3], v0, s14, 0
	v_mov_b32_e32 v15, s13
	v_add_co_u32_e32 v12, vcc, s12, v12
	v_add3_u32 v1, v1, v16, v14
	v_addc_co_u32_e32 v13, vcc, v15, v13, vcc
	v_lshlrev_b64 v[0:1], 2, v[0:1]
	v_add_co_u32_e32 v14, vcc, s12, v0
	v_pk_mov_b32 v[2:3], s[30:31], s[30:31] op_sel:[0,1]
	v_addc_co_u32_e32 v15, vcc, v15, v1, vcc
	v_lshlrev_b32_e32 v8, 5, v5
	v_mov_b32_e32 v0, 0x1000
	v_cmp_lt_i64_e32 vcc, s[34:35], v[2:3]
	v_add_lshl_u32 v8, v8, v4, 2
	s_cmp_lg_u32 s8, 1
	v_lshl_add_u32 v17, v5, 7, v0
	v_cndmask_b32_e64 v0, 0, 1, vcc
	v_add_u32_e32 v9, 0x1000, v8
	s_mov_b32 s33, 0
	s_mul_i32 s46, s11, s11
	v_cmp_neq_f32_e64 s[24:25], s28, 0
	s_cselect_b64 s[26:27], -1, 0
	v_lshlrev_b32_e32 v16, 2, v4
	v_cmp_ne_u32_e64 s[2:3], 1, v0
	s_branch .LBB13_12
.LBB13_11:                              ;   in Loop: Header=BB13_12 Depth=1
	s_or_b64 exec, exec, s[4:5]
	s_add_i32 s33, s33, 32
	s_cmp_lt_i32 s33, s11
	s_cbranch_scc0 .LBB13_53
.LBB13_12:                              ; =>This Loop Header: Depth=1
                                        ;     Child Loop BB13_15 Depth 2
                                        ;       Child Loop BB13_17 Depth 3
	v_add_u32_e32 v19, s33, v4
	s_and_b64 vcc, exec, s[2:3]
	v_mov_b32_e32 v18, 0
	v_cmp_gt_i32_e64 s[4:5], s11, v19
	s_cbranch_vccnz .LBB13_41
; %bb.13:                               ;   in Loop: Header=BB13_12 Depth=1
	v_mul_lo_u32 v20, v19, s11
	v_mov_b32_e32 v18, 0
	s_mov_b64 s[12:13], s[34:35]
	s_branch .LBB13_15
.LBB13_14:                              ;   in Loop: Header=BB13_15 Depth=2
	s_add_u32 s12, s12, 1
	s_addc_u32 s13, s13, 0
	v_pk_mov_b32 v[0:1], s[30:31], s[30:31] op_sel:[0,1]
	v_cmp_ge_i64_e32 vcc, s[12:13], v[0:1]
	s_cbranch_vccnz .LBB13_41
.LBB13_15:                              ;   Parent Loop BB13_12 Depth=1
                                        ; =>  This Loop Header: Depth=2
                                        ;       Child Loop BB13_17 Depth 3
	s_lshl_b64 s[38:39], s[12:13], 2
	s_add_u32 s38, s16, s38
	s_addc_u32 s39, s17, s39
	s_load_dword s8, s[38:39], 0x0
	s_mul_i32 s39, s13, s46
	s_mul_hi_u32 s40, s12, s46
	s_mul_i32 s38, s12, s46
	s_add_i32 s39, s40, s39
	s_waitcnt lgkmcnt(0)
	s_sub_i32 s8, s8, s9
	s_lshl_b64 s[38:39], s[38:39], 1
	s_mul_i32 s40, s8, s11
	s_add_u32 s8, s18, s38
	s_addc_u32 s47, s19, s39
	v_add_u32_e32 v21, s40, v4
	s_mov_b32 s48, 0
	s_branch .LBB13_17
.LBB13_16:                              ;   in Loop: Header=BB13_17 Depth=3
	s_or_b64 exec, exec, s[38:39]
	ds_write_b32 v8, v1
	s_waitcnt lgkmcnt(0)
	s_barrier
	ds_read2_b32 v[34:35], v16 offset1:32
	ds_read_b128 v[0:3], v17
	ds_read_b128 v[22:25], v17 offset:16
	ds_read2_b32 v[36:37], v16 offset0:64 offset1:96
	ds_read_b128 v[26:29], v17 offset:32
	ds_read_b128 v[30:33], v17 offset:48
	ds_read2_b32 v[38:39], v16 offset0:128 offset1:160
	s_waitcnt lgkmcnt(5)
	v_fmac_f32_e32 v18, v34, v0
	v_fmac_f32_e32 v18, v35, v1
	ds_read2_b32 v[0:1], v16 offset0:192 offset1:224
	s_waitcnt lgkmcnt(4)
	v_fmac_f32_e32 v18, v36, v2
	v_fmac_f32_e32 v18, v37, v3
	s_waitcnt lgkmcnt(1)
	v_fmac_f32_e32 v18, v38, v22
	v_add_u32_e32 v34, 0x400, v16
	ds_read2_b32 v[2:3], v34 offset1:32
	v_fmac_f32_e32 v18, v39, v23
	s_waitcnt lgkmcnt(1)
	v_fmac_f32_e32 v18, v0, v24
	v_fmac_f32_e32 v18, v1, v25
	ds_read2_b32 v[0:1], v34 offset0:64 offset1:96
	ds_read2_b32 v[22:23], v34 offset0:128 offset1:160
	s_waitcnt lgkmcnt(2)
	v_fmac_f32_e32 v18, v2, v26
	v_fmac_f32_e32 v18, v3, v27
	ds_read2_b32 v[24:25], v34 offset0:192 offset1:224
	s_waitcnt lgkmcnt(2)
	v_fmac_f32_e32 v18, v0, v28
	v_fmac_f32_e32 v18, v1, v29
	s_waitcnt lgkmcnt(1)
	v_fmac_f32_e32 v18, v22, v30
	v_fmac_f32_e32 v18, v23, v31
	s_waitcnt lgkmcnt(0)
	v_fmac_f32_e32 v18, v24, v32
	v_add_u32_e32 v32, 0x800, v16
	ds_read2_b32 v[26:27], v32 offset1:32
	ds_read_b128 v[0:3], v17 offset:64
	v_fmac_f32_e32 v18, v25, v33
	ds_read2_b32 v[28:29], v32 offset0:64 offset1:96
	ds_read2_b32 v[30:31], v32 offset0:128 offset1:160
	ds_read_b128 v[22:25], v17 offset:80
	s_add_i32 s48, s48, 32
	s_cmp_ge_i32 s48, s11
	s_waitcnt lgkmcnt(3)
	v_fmac_f32_e32 v18, v26, v0
	v_fmac_f32_e32 v18, v27, v1
	ds_read2_b32 v[26:27], v32 offset0:192 offset1:224
	s_waitcnt lgkmcnt(3)
	v_fmac_f32_e32 v18, v28, v2
	v_fmac_f32_e32 v18, v29, v3
	v_add_u32_e32 v32, 0xc00, v16
	s_waitcnt lgkmcnt(1)
	v_fmac_f32_e32 v18, v30, v22
	ds_read2_b32 v[28:29], v32 offset1:32
	ds_read_b128 v[0:3], v17 offset:96
	v_fmac_f32_e32 v18, v31, v23
	s_waitcnt lgkmcnt(2)
	v_fmac_f32_e32 v18, v26, v24
	v_fmac_f32_e32 v18, v27, v25
	ds_read2_b32 v[26:27], v32 offset0:64 offset1:96
	ds_read_b128 v[22:25], v17 offset:112
	ds_read2_b32 v[30:31], v32 offset0:128 offset1:160
	s_waitcnt lgkmcnt(3)
	v_fmac_f32_e32 v18, v28, v0
	v_fmac_f32_e32 v18, v29, v1
	ds_read2_b32 v[0:1], v32 offset0:192 offset1:224
	s_waitcnt lgkmcnt(3)
	v_fmac_f32_e32 v18, v26, v2
	v_fmac_f32_e32 v18, v27, v3
	s_waitcnt lgkmcnt(1)
	v_fmac_f32_e32 v18, v30, v22
	v_fmac_f32_e32 v18, v31, v23
	;; [unrolled: 3-line block ×3, first 2 shown]
	s_barrier
	s_cbranch_scc1 .LBB13_14
.LBB13_17:                              ;   Parent Loop BB13_12 Depth=1
                                        ;     Parent Loop BB13_15 Depth=2
                                        ; =>    This Inner Loop Header: Depth=3
	s_and_b64 vcc, exec, s[36:37]
	s_cbranch_vccz .LBB13_23
; %bb.18:                               ;   in Loop: Header=BB13_17 Depth=3
	s_mov_b64 s[40:41], 0
	s_mov_b64 s[38:39], 0
                                        ; implicit-def: $vgpr0_vgpr1
	s_and_saveexec_b64 s[42:43], s[0:1]
	s_cbranch_execz .LBB13_22
; %bb.19:                               ;   in Loop: Header=BB13_17 Depth=3
	v_add_u32_e32 v0, s48, v4
	v_cmp_gt_i32_e32 vcc, s11, v0
                                        ; implicit-def: $vgpr0_vgpr1
	s_and_saveexec_b64 s[44:45], vcc
	s_xor_b64 s[44:45], exec, s[44:45]
; %bb.20:                               ;   in Loop: Header=BB13_17 Depth=3
	v_add_u32_e32 v0, s48, v21
	v_ashrrev_i32_e32 v1, 31, v0
	v_mul_lo_u32 v2, v1, s22
	v_mul_lo_u32 v3, v0, s23
	v_mad_u64_u32 v[0:1], s[50:51], v0, s22, 0
	v_add3_u32 v1, v1, v3, v2
	v_lshlrev_b64 v[0:1], 1, v[0:1]
	v_add_co_u32_e32 v0, vcc, v6, v0
	s_mov_b64 s[38:39], exec
	v_addc_co_u32_e32 v1, vcc, v7, v1, vcc
; %bb.21:                               ;   in Loop: Header=BB13_17 Depth=3
	s_or_b64 exec, exec, s[44:45]
	s_and_b64 s[38:39], s[38:39], exec
.LBB13_22:                              ;   in Loop: Header=BB13_17 Depth=3
	s_or_b64 exec, exec, s[42:43]
	s_mov_b32 s42, 0
	s_and_b64 vcc, exec, s[40:41]
	s_cbranch_vccnz .LBB13_24
	s_branch .LBB13_29
.LBB13_23:                              ;   in Loop: Header=BB13_17 Depth=3
	s_mov_b64 s[38:39], 0
                                        ; implicit-def: $vgpr0_vgpr1
                                        ; implicit-def: $sgpr42
	s_cbranch_execz .LBB13_29
.LBB13_24:                              ;   in Loop: Header=BB13_17 Depth=3
                                        ; implicit-def: $vgpr0_vgpr1
	s_and_saveexec_b64 s[40:41], s[0:1]
	s_cbranch_execz .LBB13_28
; %bb.25:                               ;   in Loop: Header=BB13_17 Depth=3
	v_add_u32_e32 v0, s48, v4
	v_cmp_gt_i32_e32 vcc, s11, v0
	s_mov_b64 s[44:45], s[38:39]
                                        ; implicit-def: $vgpr0_vgpr1
	s_and_saveexec_b64 s[42:43], vcc
; %bb.26:                               ;   in Loop: Header=BB13_17 Depth=3
	v_add_u32_e32 v0, s48, v21
	v_ashrrev_i32_e32 v1, 31, v0
	v_lshlrev_b64 v[0:1], 1, v[0:1]
	v_add_co_u32_e32 v0, vcc, v10, v0
	v_addc_co_u32_e32 v1, vcc, v11, v1, vcc
	s_or_b64 s[44:45], s[38:39], exec
; %bb.27:                               ;   in Loop: Header=BB13_17 Depth=3
	s_or_b64 exec, exec, s[42:43]
	s_andn2_b64 s[38:39], s[38:39], exec
	s_and_b64 s[42:43], s[44:45], exec
	s_or_b64 s[38:39], s[38:39], s[42:43]
.LBB13_28:                              ;   in Loop: Header=BB13_17 Depth=3
	s_or_b64 exec, exec, s[40:41]
	s_mov_b32 s42, 0
.LBB13_29:                              ;   in Loop: Header=BB13_17 Depth=3
	v_mov_b32_e32 v2, s42
	s_and_saveexec_b64 s[40:41], s[38:39]
	s_cbranch_execnz .LBB13_39
; %bb.30:                               ;   in Loop: Header=BB13_17 Depth=3
	s_or_b64 exec, exec, s[40:41]
	s_and_b64 vcc, exec, s[6:7]
	ds_write_b32 v9, v2
	s_cbranch_vccz .LBB13_40
.LBB13_31:                              ;   in Loop: Header=BB13_17 Depth=3
	s_mov_b64 s[38:39], 0
	s_mov_b64 s[40:41], 0
                                        ; implicit-def: $vgpr0
	s_and_saveexec_b64 s[42:43], s[4:5]
	s_cbranch_execz .LBB13_35
; %bb.32:                               ;   in Loop: Header=BB13_17 Depth=3
	v_add_u32_e32 v1, s48, v5
	v_cmp_gt_i32_e32 vcc, s11, v1
                                        ; implicit-def: $vgpr0
	s_and_saveexec_b64 s[44:45], vcc
	s_xor_b64 s[44:45], exec, s[44:45]
; %bb.33:                               ;   in Loop: Header=BB13_17 Depth=3
	s_mov_b64 s[40:41], exec
	v_mul_lo_u32 v0, v1, s11
; %bb.34:                               ;   in Loop: Header=BB13_17 Depth=3
	s_or_b64 exec, exec, s[44:45]
	s_and_b64 s[40:41], s[40:41], exec
.LBB13_35:                              ;   in Loop: Header=BB13_17 Depth=3
	s_or_b64 exec, exec, s[42:43]
	s_mov_b32 s42, 0
	v_mov_b32_e32 v2, v19
	s_and_b64 vcc, exec, s[38:39]
	s_cbranch_vccz .LBB13_37
.LBB13_36:                              ;   in Loop: Header=BB13_17 Depth=3
	v_add_u32_e32 v0, s48, v5
	v_cmp_gt_i32_e32 vcc, s11, v0
	s_and_b64 s[38:39], s[4:5], vcc
	s_andn2_b64 s[40:41], s[40:41], exec
	s_and_b64 s[38:39], s[38:39], exec
	s_mov_b32 s42, 0
	s_or_b64 s[40:41], s[40:41], s[38:39]
	v_mov_b32_e32 v2, v20
.LBB13_37:                              ;   in Loop: Header=BB13_17 Depth=3
	v_mov_b32_e32 v1, s42
	s_and_saveexec_b64 s[38:39], s[40:41]
	s_cbranch_execz .LBB13_16
; %bb.38:                               ;   in Loop: Header=BB13_17 Depth=3
	v_ashrrev_i32_e32 v3, 31, v2
	v_lshlrev_b64 v[2:3], 1, v[2:3]
	v_mov_b32_e32 v1, s47
	v_add_co_u32_e32 v2, vcc, s8, v2
	v_addc_co_u32_e32 v3, vcc, v1, v3, vcc
	v_ashrrev_i32_e32 v1, 31, v0
	v_lshlrev_b64 v[0:1], 1, v[0:1]
	v_add_co_u32_e32 v0, vcc, v2, v0
	v_addc_co_u32_e32 v1, vcc, v3, v1, vcc
	global_load_ushort v0, v[0:1], off
	s_waitcnt vmcnt(0)
	v_cvt_f32_f16_e32 v1, v0
	s_branch .LBB13_16
.LBB13_39:                              ;   in Loop: Header=BB13_17 Depth=3
	global_load_ushort v0, v[0:1], off
	s_waitcnt vmcnt(0)
	v_cvt_f32_f16_e32 v2, v0
	s_or_b64 exec, exec, s[40:41]
	s_and_b64 vcc, exec, s[6:7]
	ds_write_b32 v9, v2
	s_cbranch_vccnz .LBB13_31
.LBB13_40:                              ;   in Loop: Header=BB13_17 Depth=3
	s_mov_b64 s[40:41], 0
                                        ; implicit-def: $vgpr2
                                        ; implicit-def: $vgpr0
                                        ; implicit-def: $sgpr42
	s_cbranch_execnz .LBB13_36
	s_branch .LBB13_37
.LBB13_41:                              ;   in Loop: Header=BB13_12 Depth=1
	v_cmp_gt_i32_e32 vcc, s11, v19
	s_and_b64 s[12:13], s[20:21], vcc
	s_and_saveexec_b64 s[4:5], s[12:13]
	s_cbranch_execz .LBB13_11
; %bb.42:                               ;   in Loop: Header=BB13_12 Depth=1
	v_add_u32_e32 v0, s29, v19
	s_and_b64 vcc, exec, s[24:25]
	v_ashrrev_i32_e32 v1, 31, v0
	s_mov_b64 s[12:13], -1
	s_cbranch_vccz .LBB13_48
; %bb.43:                               ;   in Loop: Header=BB13_12 Depth=1
	s_and_b64 vcc, exec, s[26:27]
	s_cbranch_vccz .LBB13_45
; %bb.44:                               ;   in Loop: Header=BB13_12 Depth=1
	v_mul_lo_u32 v19, v1, s14
	v_mul_lo_u32 v20, v0, s15
	v_mad_u64_u32 v[2:3], s[12:13], v0, s14, 0
	v_add3_u32 v3, v3, v20, v19
	v_lshlrev_b64 v[2:3], 2, v[2:3]
	v_add_co_u32_e32 v2, vcc, v12, v2
	v_addc_co_u32_e32 v3, vcc, v13, v3, vcc
	global_load_dword v19, v[2:3], off
	v_mul_f32_e32 v20, s10, v18
	s_mov_b64 s[12:13], 0
	s_waitcnt vmcnt(0)
	v_fmac_f32_e32 v20, s28, v19
	global_store_dword v[2:3], v20, off
.LBB13_45:                              ;   in Loop: Header=BB13_12 Depth=1
	s_andn2_b64 vcc, exec, s[12:13]
	s_cbranch_vccnz .LBB13_47
; %bb.46:                               ;   in Loop: Header=BB13_12 Depth=1
	v_lshlrev_b64 v[2:3], 2, v[0:1]
	v_add_co_u32_e32 v2, vcc, v14, v2
	v_addc_co_u32_e32 v3, vcc, v15, v3, vcc
	global_load_dword v19, v[2:3], off
	v_mul_f32_e32 v20, s10, v18
	s_waitcnt vmcnt(0)
	v_fmac_f32_e32 v20, s28, v19
	global_store_dword v[2:3], v20, off
.LBB13_47:                              ;   in Loop: Header=BB13_12 Depth=1
	s_mov_b64 s[12:13], 0
.LBB13_48:                              ;   in Loop: Header=BB13_12 Depth=1
	s_andn2_b64 vcc, exec, s[12:13]
	s_cbranch_vccnz .LBB13_11
; %bb.49:                               ;   in Loop: Header=BB13_12 Depth=1
	v_mul_f32_e32 v2, s10, v18
	s_mov_b64 s[12:13], -1
	s_and_b64 vcc, exec, s[26:27]
	s_cbranch_vccz .LBB13_51
; %bb.50:                               ;   in Loop: Header=BB13_12 Depth=1
	v_mul_lo_u32 v3, v1, s14
	v_mul_lo_u32 v20, v0, s15
	v_mad_u64_u32 v[18:19], s[12:13], v0, s14, 0
	v_add3_u32 v19, v19, v20, v3
	v_lshlrev_b64 v[18:19], 2, v[18:19]
	v_add_co_u32_e32 v18, vcc, v12, v18
	v_addc_co_u32_e32 v19, vcc, v13, v19, vcc
	global_store_dword v[18:19], v2, off
	s_mov_b64 s[12:13], 0
.LBB13_51:                              ;   in Loop: Header=BB13_12 Depth=1
	s_andn2_b64 vcc, exec, s[12:13]
	s_cbranch_vccnz .LBB13_11
; %bb.52:                               ;   in Loop: Header=BB13_12 Depth=1
	v_lshlrev_b64 v[0:1], 2, v[0:1]
	v_add_co_u32_e32 v0, vcc, v14, v0
	v_addc_co_u32_e32 v1, vcc, v15, v1, vcc
	global_store_dword v[0:1], v2, off
	s_branch .LBB13_11
.LBB13_53:
	s_endpgm
	.section	.rodata,"a",@progbits
	.p2align	6, 0x0
	.amdhsa_kernel _ZN9rocsparseL29bsrmm_general_blockdim_kernelILj32ELj32EliDF16_DF16_ffEEvb20rocsparse_direction_T2_S2_llNS_24const_host_device_scalarIT6_EEPKT1_PKS2_PKT3_S2_PKT4_llS5_PT5_ll16rocsparse_order_21rocsparse_index_base_b
		.amdhsa_group_segment_fixed_size 8192
		.amdhsa_private_segment_fixed_size 0
		.amdhsa_kernarg_size 140
		.amdhsa_user_sgpr_count 6
		.amdhsa_user_sgpr_private_segment_buffer 1
		.amdhsa_user_sgpr_dispatch_ptr 0
		.amdhsa_user_sgpr_queue_ptr 0
		.amdhsa_user_sgpr_kernarg_segment_ptr 1
		.amdhsa_user_sgpr_dispatch_id 0
		.amdhsa_user_sgpr_flat_scratch_init 0
		.amdhsa_user_sgpr_kernarg_preload_length 0
		.amdhsa_user_sgpr_kernarg_preload_offset 0
		.amdhsa_user_sgpr_private_segment_size 0
		.amdhsa_uses_dynamic_stack 0
		.amdhsa_system_sgpr_private_segment_wavefront_offset 0
		.amdhsa_system_sgpr_workgroup_id_x 1
		.amdhsa_system_sgpr_workgroup_id_y 1
		.amdhsa_system_sgpr_workgroup_id_z 0
		.amdhsa_system_sgpr_workgroup_info 0
		.amdhsa_system_vgpr_workitem_id 1
		.amdhsa_next_free_vgpr 40
		.amdhsa_next_free_sgpr 52
		.amdhsa_accum_offset 40
		.amdhsa_reserve_vcc 1
		.amdhsa_reserve_flat_scratch 0
		.amdhsa_float_round_mode_32 0
		.amdhsa_float_round_mode_16_64 0
		.amdhsa_float_denorm_mode_32 3
		.amdhsa_float_denorm_mode_16_64 3
		.amdhsa_dx10_clamp 1
		.amdhsa_ieee_mode 1
		.amdhsa_fp16_overflow 0
		.amdhsa_tg_split 0
		.amdhsa_exception_fp_ieee_invalid_op 0
		.amdhsa_exception_fp_denorm_src 0
		.amdhsa_exception_fp_ieee_div_zero 0
		.amdhsa_exception_fp_ieee_overflow 0
		.amdhsa_exception_fp_ieee_underflow 0
		.amdhsa_exception_fp_ieee_inexact 0
		.amdhsa_exception_int_div_zero 0
	.end_amdhsa_kernel
	.section	.text._ZN9rocsparseL29bsrmm_general_blockdim_kernelILj32ELj32EliDF16_DF16_ffEEvb20rocsparse_direction_T2_S2_llNS_24const_host_device_scalarIT6_EEPKT1_PKS2_PKT3_S2_PKT4_llS5_PT5_ll16rocsparse_order_21rocsparse_index_base_b,"axG",@progbits,_ZN9rocsparseL29bsrmm_general_blockdim_kernelILj32ELj32EliDF16_DF16_ffEEvb20rocsparse_direction_T2_S2_llNS_24const_host_device_scalarIT6_EEPKT1_PKS2_PKT3_S2_PKT4_llS5_PT5_ll16rocsparse_order_21rocsparse_index_base_b,comdat
.Lfunc_end13:
	.size	_ZN9rocsparseL29bsrmm_general_blockdim_kernelILj32ELj32EliDF16_DF16_ffEEvb20rocsparse_direction_T2_S2_llNS_24const_host_device_scalarIT6_EEPKT1_PKS2_PKT3_S2_PKT4_llS5_PT5_ll16rocsparse_order_21rocsparse_index_base_b, .Lfunc_end13-_ZN9rocsparseL29bsrmm_general_blockdim_kernelILj32ELj32EliDF16_DF16_ffEEvb20rocsparse_direction_T2_S2_llNS_24const_host_device_scalarIT6_EEPKT1_PKS2_PKT3_S2_PKT4_llS5_PT5_ll16rocsparse_order_21rocsparse_index_base_b
                                        ; -- End function
	.section	.AMDGPU.csdata,"",@progbits
; Kernel info:
; codeLenInByte = 1992
; NumSgprs: 56
; NumVgprs: 40
; NumAgprs: 0
; TotalNumVgprs: 40
; ScratchSize: 0
; MemoryBound: 0
; FloatMode: 240
; IeeeMode: 1
; LDSByteSize: 8192 bytes/workgroup (compile time only)
; SGPRBlocks: 6
; VGPRBlocks: 4
; NumSGPRsForWavesPerEU: 56
; NumVGPRsForWavesPerEU: 40
; AccumOffset: 40
; Occupancy: 8
; WaveLimiterHint : 0
; COMPUTE_PGM_RSRC2:SCRATCH_EN: 0
; COMPUTE_PGM_RSRC2:USER_SGPR: 6
; COMPUTE_PGM_RSRC2:TRAP_HANDLER: 0
; COMPUTE_PGM_RSRC2:TGID_X_EN: 1
; COMPUTE_PGM_RSRC2:TGID_Y_EN: 1
; COMPUTE_PGM_RSRC2:TGID_Z_EN: 0
; COMPUTE_PGM_RSRC2:TIDIG_COMP_CNT: 1
; COMPUTE_PGM_RSRC3_GFX90A:ACCUM_OFFSET: 9
; COMPUTE_PGM_RSRC3_GFX90A:TG_SPLIT: 0
	.section	.text._ZN9rocsparseL29bsrmm_general_blockdim_kernelILj32ELj32EllDF16_DF16_ffEEvb20rocsparse_direction_T2_S2_llNS_24const_host_device_scalarIT6_EEPKT1_PKS2_PKT3_S2_PKT4_llS5_PT5_ll16rocsparse_order_21rocsparse_index_base_b,"axG",@progbits,_ZN9rocsparseL29bsrmm_general_blockdim_kernelILj32ELj32EllDF16_DF16_ffEEvb20rocsparse_direction_T2_S2_llNS_24const_host_device_scalarIT6_EEPKT1_PKS2_PKT3_S2_PKT4_llS5_PT5_ll16rocsparse_order_21rocsparse_index_base_b,comdat
	.globl	_ZN9rocsparseL29bsrmm_general_blockdim_kernelILj32ELj32EllDF16_DF16_ffEEvb20rocsparse_direction_T2_S2_llNS_24const_host_device_scalarIT6_EEPKT1_PKS2_PKT3_S2_PKT4_llS5_PT5_ll16rocsparse_order_21rocsparse_index_base_b ; -- Begin function _ZN9rocsparseL29bsrmm_general_blockdim_kernelILj32ELj32EllDF16_DF16_ffEEvb20rocsparse_direction_T2_S2_llNS_24const_host_device_scalarIT6_EEPKT1_PKS2_PKT3_S2_PKT4_llS5_PT5_ll16rocsparse_order_21rocsparse_index_base_b
	.p2align	8
	.type	_ZN9rocsparseL29bsrmm_general_blockdim_kernelILj32ELj32EllDF16_DF16_ffEEvb20rocsparse_direction_T2_S2_llNS_24const_host_device_scalarIT6_EEPKT1_PKS2_PKT3_S2_PKT4_llS5_PT5_ll16rocsparse_order_21rocsparse_index_base_b,@function
_ZN9rocsparseL29bsrmm_general_blockdim_kernelILj32ELj32EllDF16_DF16_ffEEvb20rocsparse_direction_T2_S2_llNS_24const_host_device_scalarIT6_EEPKT1_PKS2_PKT3_S2_PKT4_llS5_PT5_ll16rocsparse_order_21rocsparse_index_base_b: ; @_ZN9rocsparseL29bsrmm_general_blockdim_kernelILj32ELj32EllDF16_DF16_ffEEvb20rocsparse_direction_T2_S2_llNS_24const_host_device_scalarIT6_EEPKT1_PKS2_PKT3_S2_PKT4_llS5_PT5_ll16rocsparse_order_21rocsparse_index_base_b
; %bb.0:
	s_load_dwordx4 s[20:23], s[4:5], 0x88
	s_mov_b32 s0, s7
	s_waitcnt lgkmcnt(0)
	s_bitcmp1_b32 s22, 0
	s_load_dwordx2 s[22:23], s[4:5], 0x28
	s_load_dwordx2 s[28:29], s[4:5], 0x68
	s_cselect_b64 s[8:9], -1, 0
	s_xor_b64 s[2:3], s[8:9], -1
	s_and_b64 vcc, exec, s[8:9]
	s_cbranch_vccnz .LBB14_2
; %bb.1:
	s_waitcnt lgkmcnt(0)
	s_load_dword s22, s[22:23], 0x0
.LBB14_2:
	s_andn2_b64 vcc, exec, s[2:3]
	s_cbranch_vccnz .LBB14_4
; %bb.3:
	s_waitcnt lgkmcnt(0)
	s_load_dword s28, s[28:29], 0x0
.LBB14_4:
	s_waitcnt lgkmcnt(0)
	v_cmp_eq_f32_e64 s[2:3], s22, 0
	v_cmp_eq_f32_e64 s[8:9], s28, 1.0
	s_and_b64 s[2:3], s[2:3], s[8:9]
	s_and_b64 vcc, exec, s[2:3]
	s_cbranch_vccnz .LBB14_53
; %bb.5:
	s_load_dwordx4 s[24:27], s[4:5], 0x8
	s_load_dwordx2 s[8:9], s[4:5], 0x30
	s_ashr_i32 s7, s6, 31
	s_mov_b64 s[30:31], 0
	s_waitcnt lgkmcnt(0)
	v_pk_mov_b32 v[2:3], s[24:25], s[24:25] op_sel:[0,1]
	v_cmp_ge_i64_e32 vcc, s[6:7], v[2:3]
	v_cmp_lt_i64_e64 s[2:3], s[6:7], v[2:3]
	s_mov_b64 s[24:25], 0
	s_cbranch_vccz .LBB14_8
; %bb.6:
	s_andn2_b64 vcc, exec, s[2:3]
	s_cbranch_vccz .LBB14_9
.LBB14_7:
	s_load_dwordx2 s[34:35], s[4:5], 0x48
	s_waitcnt lgkmcnt(0)
	v_cmp_lt_i64_e64 s[8:9], s[34:35], 1
	s_and_b64 vcc, exec, s[8:9]
	s_cbranch_vccz .LBB14_10
	s_branch .LBB14_53
.LBB14_8:
	s_lshl_b64 s[10:11], s[6:7], 3
	s_add_u32 s10, s8, s10
	s_addc_u32 s11, s9, s11
	s_load_dwordx2 s[10:11], s[10:11], 0x0
	s_waitcnt lgkmcnt(0)
	s_sub_u32 s24, s10, s21
	s_subb_u32 s25, s11, 0
	s_andn2_b64 vcc, exec, s[2:3]
	s_cbranch_vccnz .LBB14_7
.LBB14_9:
	s_lshl_b64 s[10:11], s[6:7], 3
	s_add_u32 s8, s8, s10
	s_addc_u32 s9, s9, s11
	s_load_dwordx2 s[8:9], s[8:9], 0x8
	s_waitcnt lgkmcnt(0)
	s_sub_u32 s30, s8, s21
	s_subb_u32 s31, s9, 0
	s_load_dwordx2 s[34:35], s[4:5], 0x48
	s_waitcnt lgkmcnt(0)
	v_cmp_lt_i64_e64 s[8:9], s[34:35], 1
	s_and_b64 vcc, exec, s[8:9]
	s_cbranch_vccnz .LBB14_53
.LBB14_10:
	s_load_dwordx4 s[8:11], s[4:5], 0x70
	s_load_dwordx4 s[12:15], s[4:5], 0x50
	;; [unrolled: 1-line block ×3, first 2 shown]
	s_load_dwordx2 s[38:39], s[4:5], 0x0
	v_bfe_u32 v2, v0, 10, 10
	v_lshl_add_u32 v6, s0, 5, v2
	v_mov_b32_e32 v7, 0
	v_lshlrev_b64 v[4:5], 2, v[6:7]
	s_waitcnt lgkmcnt(0)
	s_bitcmp1_b32 s38, 0
	s_cselect_b64 s[0:1], -1, 0
	s_xor_b64 s[36:37], s[0:1], -1
	s_mul_i32 s0, s6, s35
	s_mul_hi_u32 s1, s6, s34
	s_add_i32 s23, s1, s0
	s_mul_i32 s0, s34, s35
	s_mul_hi_u32 s1, s34, s34
	v_mov_b32_e32 v12, s9
	v_add_co_u32_e32 v1, vcc, s8, v4
	s_add_i32 s1, s1, s0
	v_addc_co_u32_e32 v3, vcc, v12, v5, vcc
	s_add_i32 s7, s1, s0
	v_lshlrev_b64 v[4:5], 1, v[6:7]
	v_and_b32_e32 v0, 0x3ff, v0
	v_mov_b32_e32 v13, s13
	v_add_co_u32_e32 v20, vcc, s12, v4
	v_cmp_gt_i64_e64 s[0:1], s[26:27], v[6:7]
	v_lshlrev_b32_e32 v4, 5, v2
	s_cmp_lg_u32 s39, 0
	v_addc_co_u32_e32 v21, vcc, v13, v5, vcc
	v_add_lshl_u32 v22, v4, v0, 2
	s_cselect_b64 s[26:27], -1, 0
	s_and_b64 s[38:39], s[2:3], s[0:1]
	v_mad_u64_u32 v[4:5], s[2:3], v6, s10, 0
	v_mov_b32_e32 v10, v5
	v_mad_u64_u32 v[10:11], s[2:3], v6, s11, v[10:11]
	v_mov_b32_e32 v5, v10
	v_lshlrev_b64 v[4:5], 2, v[4:5]
	v_add_co_u32_e32 v24, vcc, s8, v4
	v_mov_b32_e32 v4, 0x1000
	v_addc_co_u32_e32 v25, vcc, v12, v5, vcc
	v_lshl_add_u32 v27, v2, 7, v4
	v_mad_u64_u32 v[4:5], s[2:3], s14, v6, 0
	v_mov_b32_e32 v10, v5
	v_mad_u64_u32 v[10:11], s[2:3], s15, v6, v[10:11]
	v_mov_b32_e32 v5, v10
	v_lshlrev_b64 v[4:5], 1, v[4:5]
	v_lshlrev_b32_e32 v6, 1, v0
	s_cmp_lg_u32 s20, 1
	v_add_co_u32_e32 v4, vcc, v4, v6
	s_mul_i32 s2, s24, s35
	s_mul_hi_u32 s3, s24, s34
	s_mov_b32 s33, s21
	s_cselect_b64 s[20:21], -1, 0
	v_addc_co_u32_e32 v5, vcc, 0, v5, vcc
	s_add_i32 s2, s3, s2
	s_mul_i32 s3, s25, s34
	v_add_co_u32_e32 v4, vcc, s12, v4
	s_add_i32 s3, s2, s3
	s_mul_i32 s2, s24, s34
	v_addc_co_u32_e32 v5, vcc, v13, v5, vcc
	s_lshl_b64 s[2:3], s[2:3], 1
	v_mov_b32_e32 v10, s3
	v_add_co_u32_e32 v11, vcc, s2, v6
	v_addc_co_u32_e32 v10, vcc, 0, v10, vcc
	v_lshlrev_b32_e32 v6, 1, v2
	v_mul_lo_u32 v10, s34, v10
	v_mul_lo_u32 v12, s35, v11
	v_mad_u64_u32 v[6:7], s[2:3], s34, v11, v[6:7]
	s_mul_i32 s29, s6, s34
	s_mul_i32 s6, s34, s34
	v_pk_mov_b32 v[8:9], s[30:31], s[30:31] op_sel:[0,1]
	v_add3_u32 v7, v12, v7, v10
	v_mov_b32_e32 v28, s19
	v_add_co_u32_e32 v6, vcc, s18, v6
	v_add_u32_e32 v23, 0x1000, v22
	v_cmp_neq_f32_e64 s[40:41], s28, 0
	v_lshlrev_b32_e32 v26, 2, v0
	s_lshl_b64 s[8:9], s[34:35], 1
	v_addc_co_u32_e32 v7, vcc, v28, v7, vcc
	s_lshl_b64 s[12:13], s[34:35], 6
	s_lshl_b64 s[42:43], s[6:7], 1
	s_mov_b64 s[44:45], 0
	v_cmp_lt_i64_e64 s[2:3], s[24:25], v[8:9]
	s_branch .LBB14_12
.LBB14_11:                              ;   in Loop: Header=BB14_12 Depth=1
	s_or_b64 exec, exec, s[4:5]
	s_add_u32 s44, s44, 32
	v_mov_b32_e32 v8, s13
	v_add_co_u32_e32 v6, vcc, s12, v6
	s_addc_u32 s45, s45, 0
	v_addc_co_u32_e32 v7, vcc, v7, v8, vcc
	v_pk_mov_b32 v[8:9], s[34:35], s[34:35] op_sel:[0,1]
	v_cmp_lt_i64_e32 vcc, s[44:45], v[8:9]
	s_cbranch_vccz .LBB14_53
.LBB14_12:                              ; =>This Loop Header: Depth=1
                                        ;     Child Loop BB14_15 Depth 2
                                        ;       Child Loop BB14_17 Depth 3
	v_mov_b32_e32 v9, s45
	v_add_co_u32_e32 v8, vcc, s44, v0
	v_addc_co_u32_e32 v9, vcc, 0, v9, vcc
	s_andn2_b64 vcc, exec, s[2:3]
	v_cmp_gt_i64_e64 s[4:5], s[34:35], v[8:9]
	v_mov_b32_e32 v29, 0
	s_cbranch_vccnz .LBB14_41
; %bb.13:                               ;   in Loop: Header=BB14_12 Depth=1
	v_lshlrev_b64 v[10:11], 1, v[8:9]
	v_add_co_u32_e32 v30, vcc, s18, v10
	v_addc_co_u32_e32 v31, vcc, v28, v11, vcc
	v_mov_b32_e32 v29, 0
	v_pk_mov_b32 v[10:11], v[6:7], v[6:7] op_sel:[0,1]
	s_mov_b64 s[46:47], s[24:25]
	s_branch .LBB14_15
.LBB14_14:                              ;   in Loop: Header=BB14_15 Depth=2
	s_add_u32 s46, s46, 1
	v_mov_b32_e32 v12, s43
	v_add_co_u32_e32 v10, vcc, s42, v10
	s_addc_u32 s47, s47, 0
	v_addc_co_u32_e32 v11, vcc, v11, v12, vcc
	v_pk_mov_b32 v[12:13], s[30:31], s[30:31] op_sel:[0,1]
	v_cmp_ge_i64_e32 vcc, s[46:47], v[12:13]
	s_cbranch_vccnz .LBB14_41
.LBB14_15:                              ;   Parent Loop BB14_12 Depth=1
                                        ; =>  This Loop Header: Depth=2
                                        ;       Child Loop BB14_17 Depth 3
	s_mul_i32 s19, s6, s47
	s_mul_hi_u32 s48, s6, s46
	s_add_i32 s19, s48, s19
	s_mul_i32 s48, s7, s46
	s_add_i32 s49, s19, s48
	s_lshl_b64 s[50:51], s[46:47], 3
	s_add_u32 s50, s16, s50
	s_addc_u32 s51, s17, s51
	s_load_dwordx2 s[50:51], s[50:51], 0x0
	s_mul_i32 s48, s6, s46
	v_pk_mov_b32 v[14:15], v[10:11], v[10:11] op_sel:[0,1]
	s_waitcnt lgkmcnt(0)
	s_sub_u32 s50, s50, s33
	s_subb_u32 s51, s51, 0
	s_lshl_b64 s[48:49], s[48:49], 1
	v_mov_b32_e32 v12, s49
	v_add_co_u32_e32 v32, vcc, s48, v30
	s_mul_i32 s19, s50, s35
	s_mul_hi_u32 s52, s50, s34
	v_addc_co_u32_e32 v33, vcc, v31, v12, vcc
	s_mul_i32 s48, s9, s50
	s_mul_i32 s49, s8, s51
	v_mov_b32_e32 v12, s50
	s_add_i32 s19, s52, s19
	s_mul_i32 s52, s51, s34
	s_add_i32 s51, s49, s48
	v_mad_u64_u32 v[12:13], s[48:49], s8, v12, v[4:5]
	s_add_i32 s19, s19, s52
	s_mul_i32 s58, s50, s34
	v_add_u32_e32 v13, s51, v13
	s_mov_b64 s[48:49], 0
	s_branch .LBB14_17
.LBB14_16:                              ;   in Loop: Header=BB14_17 Depth=3
	s_or_b64 exec, exec, s[52:53]
	ds_write_b32 v22, v18
	s_waitcnt lgkmcnt(0)
	s_barrier
	ds_read2_b32 v[46:47], v26 offset1:32
	ds_read_b128 v[16:19], v27
	ds_read_b128 v[34:37], v27 offset:16
	ds_read2_b32 v[48:49], v26 offset0:64 offset1:96
	ds_read_b128 v[38:41], v27 offset:32
	ds_read_b128 v[42:45], v27 offset:48
	ds_read2_b32 v[50:51], v26 offset0:128 offset1:160
	s_waitcnt lgkmcnt(5)
	v_fmac_f32_e32 v29, v46, v16
	v_fmac_f32_e32 v29, v47, v17
	ds_read2_b32 v[16:17], v26 offset0:192 offset1:224
	s_waitcnt lgkmcnt(4)
	v_fmac_f32_e32 v29, v48, v18
	v_fmac_f32_e32 v29, v49, v19
	s_waitcnt lgkmcnt(1)
	v_fmac_f32_e32 v29, v50, v34
	v_add_u32_e32 v46, 0x400, v26
	ds_read2_b32 v[18:19], v46 offset1:32
	v_fmac_f32_e32 v29, v51, v35
	s_waitcnt lgkmcnt(1)
	v_fmac_f32_e32 v29, v16, v36
	v_fmac_f32_e32 v29, v17, v37
	ds_read2_b32 v[16:17], v46 offset0:64 offset1:96
	ds_read2_b32 v[34:35], v46 offset0:128 offset1:160
	s_waitcnt lgkmcnt(2)
	v_fmac_f32_e32 v29, v18, v38
	v_fmac_f32_e32 v29, v19, v39
	ds_read2_b32 v[36:37], v46 offset0:192 offset1:224
	s_waitcnt lgkmcnt(2)
	v_fmac_f32_e32 v29, v16, v40
	v_fmac_f32_e32 v29, v17, v41
	s_waitcnt lgkmcnt(1)
	v_fmac_f32_e32 v29, v34, v42
	v_fmac_f32_e32 v29, v35, v43
	s_waitcnt lgkmcnt(0)
	v_fmac_f32_e32 v29, v36, v44
	v_add_u32_e32 v44, 0x800, v26
	ds_read2_b32 v[38:39], v44 offset1:32
	ds_read_b128 v[16:19], v27 offset:64
	v_fmac_f32_e32 v29, v37, v45
	ds_read2_b32 v[40:41], v44 offset0:64 offset1:96
	ds_read2_b32 v[42:43], v44 offset0:128 offset1:160
	ds_read_b128 v[34:37], v27 offset:80
	v_add_co_u32_e32 v12, vcc, 64, v12
	s_waitcnt lgkmcnt(3)
	v_fmac_f32_e32 v29, v38, v16
	v_fmac_f32_e32 v29, v39, v17
	ds_read2_b32 v[38:39], v44 offset0:192 offset1:224
	s_waitcnt lgkmcnt(3)
	v_fmac_f32_e32 v29, v40, v18
	v_fmac_f32_e32 v29, v41, v19
	v_add_u32_e32 v44, 0xc00, v26
	s_waitcnt lgkmcnt(1)
	v_fmac_f32_e32 v29, v42, v34
	ds_read2_b32 v[40:41], v44 offset1:32
	ds_read_b128 v[16:19], v27 offset:96
	v_fmac_f32_e32 v29, v43, v35
	s_waitcnt lgkmcnt(2)
	v_fmac_f32_e32 v29, v38, v36
	v_fmac_f32_e32 v29, v39, v37
	ds_read2_b32 v[38:39], v44 offset0:64 offset1:96
	ds_read_b128 v[34:37], v27 offset:112
	ds_read2_b32 v[42:43], v44 offset0:128 offset1:160
	s_waitcnt lgkmcnt(3)
	v_fmac_f32_e32 v29, v40, v16
	v_fmac_f32_e32 v29, v41, v17
	ds_read2_b32 v[16:17], v44 offset0:192 offset1:224
	s_waitcnt lgkmcnt(3)
	v_fmac_f32_e32 v29, v38, v18
	v_fmac_f32_e32 v29, v39, v19
	s_waitcnt lgkmcnt(1)
	v_fmac_f32_e32 v29, v42, v34
	v_fmac_f32_e32 v29, v43, v35
	v_addc_co_u32_e32 v13, vcc, 0, v13, vcc
	s_waitcnt lgkmcnt(0)
	v_fmac_f32_e32 v29, v16, v36
	s_add_u32 s48, s48, 32
	v_add_co_u32_e32 v14, vcc, 64, v14
	v_fmac_f32_e32 v29, v17, v37
	s_addc_u32 s49, s49, 0
	v_addc_co_u32_e32 v15, vcc, 0, v15, vcc
	v_pk_mov_b32 v[16:17], s[34:35], s[34:35] op_sel:[0,1]
	v_cmp_ge_i64_e32 vcc, s[48:49], v[16:17]
	s_barrier
	s_cbranch_vccnz .LBB14_14
.LBB14_17:                              ;   Parent Loop BB14_12 Depth=1
                                        ;     Parent Loop BB14_15 Depth=2
                                        ; =>    This Inner Loop Header: Depth=3
	s_and_b64 vcc, exec, s[36:37]
	s_cbranch_vccz .LBB14_23
; %bb.18:                               ;   in Loop: Header=BB14_17 Depth=3
	s_mov_b64 s[50:51], 0
	s_mov_b64 s[52:53], 0
                                        ; implicit-def: $vgpr16_vgpr17
	s_and_saveexec_b64 s[54:55], s[0:1]
	s_cbranch_execz .LBB14_22
; %bb.19:                               ;   in Loop: Header=BB14_17 Depth=3
	v_mov_b32_e32 v16, s49
	v_add_co_u32_e32 v18, vcc, s48, v0
	v_addc_co_u32_e32 v19, vcc, 0, v16, vcc
	v_cmp_gt_i64_e32 vcc, s[34:35], v[18:19]
                                        ; implicit-def: $vgpr16_vgpr17
	s_and_saveexec_b64 s[56:57], vcc
	s_xor_b64 s[56:57], exec, s[56:57]
; %bb.20:                               ;   in Loop: Header=BB14_17 Depth=3
	v_mov_b32_e32 v16, s19
	v_add_co_u32_e32 v17, vcc, s58, v18
	v_addc_co_u32_e32 v16, vcc, v19, v16, vcc
	v_mul_lo_u32 v18, v16, s14
	v_mul_lo_u32 v19, v17, s15
	v_mad_u64_u32 v[16:17], s[60:61], v17, s14, 0
	v_add3_u32 v17, v17, v19, v18
	v_lshlrev_b64 v[16:17], 1, v[16:17]
	v_add_co_u32_e32 v16, vcc, v20, v16
	s_mov_b64 s[52:53], exec
	v_addc_co_u32_e32 v17, vcc, v21, v17, vcc
; %bb.21:                               ;   in Loop: Header=BB14_17 Depth=3
	s_or_b64 exec, exec, s[56:57]
	s_and_b64 s[52:53], s[52:53], exec
.LBB14_22:                              ;   in Loop: Header=BB14_17 Depth=3
	s_or_b64 exec, exec, s[54:55]
	s_mov_b32 s54, 0
	s_and_b64 vcc, exec, s[50:51]
	s_cbranch_vccnz .LBB14_24
	s_branch .LBB14_27
.LBB14_23:                              ;   in Loop: Header=BB14_17 Depth=3
	s_mov_b64 s[52:53], 0
                                        ; implicit-def: $vgpr16_vgpr17
                                        ; implicit-def: $sgpr54
	s_cbranch_execz .LBB14_27
.LBB14_24:                              ;   in Loop: Header=BB14_17 Depth=3
	s_and_saveexec_b64 s[50:51], s[0:1]
; %bb.25:                               ;   in Loop: Header=BB14_17 Depth=3
	v_mov_b32_e32 v17, s49
	v_add_co_u32_e32 v16, vcc, s48, v0
	v_addc_co_u32_e32 v17, vcc, 0, v17, vcc
	v_cmp_gt_i64_e32 vcc, s[34:35], v[16:17]
	s_andn2_b64 s[52:53], s[52:53], exec
	s_and_b64 s[54:55], vcc, exec
	s_or_b64 s[52:53], s[52:53], s[54:55]
; %bb.26:                               ;   in Loop: Header=BB14_17 Depth=3
	s_or_b64 exec, exec, s[50:51]
	s_mov_b32 s54, 0
	v_pk_mov_b32 v[16:17], v[12:13], v[12:13] op_sel:[0,1]
.LBB14_27:                              ;   in Loop: Header=BB14_17 Depth=3
	v_mov_b32_e32 v18, s54
	s_and_saveexec_b64 s[50:51], s[52:53]
	s_cbranch_execnz .LBB14_35
; %bb.28:                               ;   in Loop: Header=BB14_17 Depth=3
	s_or_b64 exec, exec, s[50:51]
	s_and_b64 vcc, exec, s[26:27]
	ds_write_b32 v23, v18
	s_cbranch_vccz .LBB14_36
.LBB14_29:                              ;   in Loop: Header=BB14_17 Depth=3
	s_mov_b64 s[52:53], 0
	s_mov_b64 s[50:51], 0
                                        ; implicit-def: $vgpr16_vgpr17
	s_and_saveexec_b64 s[54:55], s[4:5]
	s_cbranch_execz .LBB14_33
; %bb.30:                               ;   in Loop: Header=BB14_17 Depth=3
	v_mov_b32_e32 v16, s49
	v_add_co_u32_e32 v18, vcc, s48, v2
	v_addc_co_u32_e32 v19, vcc, 0, v16, vcc
	v_cmp_gt_i64_e32 vcc, s[34:35], v[18:19]
                                        ; implicit-def: $vgpr16_vgpr17
	s_and_saveexec_b64 s[56:57], vcc
	s_xor_b64 s[56:57], exec, s[56:57]
; %bb.31:                               ;   in Loop: Header=BB14_17 Depth=3
	v_mul_lo_u32 v19, v19, s34
	v_mul_lo_u32 v34, v18, s35
	v_mad_u64_u32 v[16:17], s[60:61], v18, s34, 0
	v_add3_u32 v17, v17, v34, v19
	v_lshlrev_b64 v[16:17], 1, v[16:17]
	v_add_co_u32_e32 v16, vcc, v32, v16
	s_mov_b64 s[50:51], exec
	v_addc_co_u32_e32 v17, vcc, v33, v17, vcc
; %bb.32:                               ;   in Loop: Header=BB14_17 Depth=3
	s_or_b64 exec, exec, s[56:57]
	s_and_b64 s[50:51], s[50:51], exec
.LBB14_33:                              ;   in Loop: Header=BB14_17 Depth=3
	s_or_b64 exec, exec, s[54:55]
	s_mov_b32 s54, 0
	s_and_b64 vcc, exec, s[52:53]
	s_cbranch_vccnz .LBB14_37
.LBB14_34:                              ;   in Loop: Header=BB14_17 Depth=3
	v_mov_b32_e32 v18, s54
	s_and_saveexec_b64 s[52:53], s[50:51]
	s_cbranch_execz .LBB14_16
	s_branch .LBB14_40
.LBB14_35:                              ;   in Loop: Header=BB14_17 Depth=3
	global_load_ushort v16, v[16:17], off
	s_waitcnt vmcnt(0)
	v_cvt_f32_f16_e32 v18, v16
	s_or_b64 exec, exec, s[50:51]
	s_and_b64 vcc, exec, s[26:27]
	ds_write_b32 v23, v18
	s_cbranch_vccnz .LBB14_29
.LBB14_36:                              ;   in Loop: Header=BB14_17 Depth=3
	s_mov_b64 s[50:51], 0
                                        ; implicit-def: $vgpr16_vgpr17
                                        ; implicit-def: $sgpr54
	s_cbranch_execz .LBB14_34
.LBB14_37:                              ;   in Loop: Header=BB14_17 Depth=3
	s_and_saveexec_b64 s[52:53], s[4:5]
; %bb.38:                               ;   in Loop: Header=BB14_17 Depth=3
	v_mov_b32_e32 v17, s49
	v_add_co_u32_e32 v16, vcc, s48, v2
	v_addc_co_u32_e32 v17, vcc, 0, v17, vcc
	v_cmp_gt_i64_e32 vcc, s[34:35], v[16:17]
	s_andn2_b64 s[50:51], s[50:51], exec
	s_and_b64 s[54:55], vcc, exec
	s_or_b64 s[50:51], s[50:51], s[54:55]
; %bb.39:                               ;   in Loop: Header=BB14_17 Depth=3
	s_or_b64 exec, exec, s[52:53]
	s_mov_b32 s54, 0
	v_pk_mov_b32 v[16:17], v[14:15], v[14:15] op_sel:[0,1]
	v_mov_b32_e32 v18, s54
	s_and_saveexec_b64 s[52:53], s[50:51]
	s_cbranch_execz .LBB14_16
.LBB14_40:                              ;   in Loop: Header=BB14_17 Depth=3
	global_load_ushort v16, v[16:17], off
	s_waitcnt vmcnt(0)
	v_cvt_f32_f16_e32 v18, v16
	s_branch .LBB14_16
.LBB14_41:                              ;   in Loop: Header=BB14_12 Depth=1
	v_cmp_gt_i64_e32 vcc, s[34:35], v[8:9]
	s_and_b64 s[46:47], s[38:39], vcc
	s_and_saveexec_b64 s[4:5], s[46:47]
	s_cbranch_execz .LBB14_11
; %bb.42:                               ;   in Loop: Header=BB14_12 Depth=1
	v_mov_b32_e32 v10, s23
	v_add_co_u32_e32 v8, vcc, s29, v8
	v_addc_co_u32_e32 v9, vcc, v9, v10, vcc
	s_mov_b64 s[46:47], -1
	s_and_b64 vcc, exec, s[40:41]
	s_cbranch_vccz .LBB14_48
; %bb.43:                               ;   in Loop: Header=BB14_12 Depth=1
	s_and_b64 vcc, exec, s[20:21]
	s_cbranch_vccz .LBB14_45
; %bb.44:                               ;   in Loop: Header=BB14_12 Depth=1
	v_mul_lo_u32 v12, v9, s10
	v_mul_lo_u32 v13, v8, s11
	v_mad_u64_u32 v[10:11], s[46:47], v8, s10, 0
	v_add3_u32 v11, v11, v13, v12
	v_lshlrev_b64 v[10:11], 2, v[10:11]
	v_add_co_u32_e32 v10, vcc, v1, v10
	v_addc_co_u32_e32 v11, vcc, v3, v11, vcc
	global_load_dword v12, v[10:11], off
	v_mul_f32_e32 v13, s22, v29
	s_mov_b64 s[46:47], 0
	s_waitcnt vmcnt(0)
	v_fmac_f32_e32 v13, s28, v12
	global_store_dword v[10:11], v13, off
.LBB14_45:                              ;   in Loop: Header=BB14_12 Depth=1
	s_andn2_b64 vcc, exec, s[46:47]
	s_cbranch_vccnz .LBB14_47
; %bb.46:                               ;   in Loop: Header=BB14_12 Depth=1
	v_lshlrev_b64 v[10:11], 2, v[8:9]
	v_add_co_u32_e32 v10, vcc, v24, v10
	v_addc_co_u32_e32 v11, vcc, v25, v11, vcc
	global_load_dword v12, v[10:11], off
	v_mul_f32_e32 v13, s22, v29
	s_waitcnt vmcnt(0)
	v_fmac_f32_e32 v13, s28, v12
	global_store_dword v[10:11], v13, off
.LBB14_47:                              ;   in Loop: Header=BB14_12 Depth=1
	s_mov_b64 s[46:47], 0
.LBB14_48:                              ;   in Loop: Header=BB14_12 Depth=1
	s_andn2_b64 vcc, exec, s[46:47]
	s_cbranch_vccnz .LBB14_11
; %bb.49:                               ;   in Loop: Header=BB14_12 Depth=1
	v_mul_f32_e32 v10, s22, v29
	s_mov_b64 s[46:47], -1
	s_and_b64 vcc, exec, s[20:21]
	s_cbranch_vccz .LBB14_51
; %bb.50:                               ;   in Loop: Header=BB14_12 Depth=1
	v_mul_lo_u32 v11, v9, s10
	v_mul_lo_u32 v14, v8, s11
	v_mad_u64_u32 v[12:13], s[46:47], v8, s10, 0
	v_add3_u32 v13, v13, v14, v11
	v_lshlrev_b64 v[12:13], 2, v[12:13]
	v_add_co_u32_e32 v12, vcc, v1, v12
	v_addc_co_u32_e32 v13, vcc, v3, v13, vcc
	global_store_dword v[12:13], v10, off
	s_mov_b64 s[46:47], 0
.LBB14_51:                              ;   in Loop: Header=BB14_12 Depth=1
	s_andn2_b64 vcc, exec, s[46:47]
	s_cbranch_vccnz .LBB14_11
; %bb.52:                               ;   in Loop: Header=BB14_12 Depth=1
	v_lshlrev_b64 v[8:9], 2, v[8:9]
	v_add_co_u32_e32 v8, vcc, v24, v8
	v_addc_co_u32_e32 v9, vcc, v25, v9, vcc
	global_store_dword v[8:9], v10, off
	s_branch .LBB14_11
.LBB14_53:
	s_endpgm
	.section	.rodata,"a",@progbits
	.p2align	6, 0x0
	.amdhsa_kernel _ZN9rocsparseL29bsrmm_general_blockdim_kernelILj32ELj32EllDF16_DF16_ffEEvb20rocsparse_direction_T2_S2_llNS_24const_host_device_scalarIT6_EEPKT1_PKS2_PKT3_S2_PKT4_llS5_PT5_ll16rocsparse_order_21rocsparse_index_base_b
		.amdhsa_group_segment_fixed_size 8192
		.amdhsa_private_segment_fixed_size 0
		.amdhsa_kernarg_size 148
		.amdhsa_user_sgpr_count 6
		.amdhsa_user_sgpr_private_segment_buffer 1
		.amdhsa_user_sgpr_dispatch_ptr 0
		.amdhsa_user_sgpr_queue_ptr 0
		.amdhsa_user_sgpr_kernarg_segment_ptr 1
		.amdhsa_user_sgpr_dispatch_id 0
		.amdhsa_user_sgpr_flat_scratch_init 0
		.amdhsa_user_sgpr_kernarg_preload_length 0
		.amdhsa_user_sgpr_kernarg_preload_offset 0
		.amdhsa_user_sgpr_private_segment_size 0
		.amdhsa_uses_dynamic_stack 0
		.amdhsa_system_sgpr_private_segment_wavefront_offset 0
		.amdhsa_system_sgpr_workgroup_id_x 1
		.amdhsa_system_sgpr_workgroup_id_y 1
		.amdhsa_system_sgpr_workgroup_id_z 0
		.amdhsa_system_sgpr_workgroup_info 0
		.amdhsa_system_vgpr_workitem_id 1
		.amdhsa_next_free_vgpr 52
		.amdhsa_next_free_sgpr 62
		.amdhsa_accum_offset 52
		.amdhsa_reserve_vcc 1
		.amdhsa_reserve_flat_scratch 0
		.amdhsa_float_round_mode_32 0
		.amdhsa_float_round_mode_16_64 0
		.amdhsa_float_denorm_mode_32 3
		.amdhsa_float_denorm_mode_16_64 3
		.amdhsa_dx10_clamp 1
		.amdhsa_ieee_mode 1
		.amdhsa_fp16_overflow 0
		.amdhsa_tg_split 0
		.amdhsa_exception_fp_ieee_invalid_op 0
		.amdhsa_exception_fp_denorm_src 0
		.amdhsa_exception_fp_ieee_div_zero 0
		.amdhsa_exception_fp_ieee_overflow 0
		.amdhsa_exception_fp_ieee_underflow 0
		.amdhsa_exception_fp_ieee_inexact 0
		.amdhsa_exception_int_div_zero 0
	.end_amdhsa_kernel
	.section	.text._ZN9rocsparseL29bsrmm_general_blockdim_kernelILj32ELj32EllDF16_DF16_ffEEvb20rocsparse_direction_T2_S2_llNS_24const_host_device_scalarIT6_EEPKT1_PKS2_PKT3_S2_PKT4_llS5_PT5_ll16rocsparse_order_21rocsparse_index_base_b,"axG",@progbits,_ZN9rocsparseL29bsrmm_general_blockdim_kernelILj32ELj32EllDF16_DF16_ffEEvb20rocsparse_direction_T2_S2_llNS_24const_host_device_scalarIT6_EEPKT1_PKS2_PKT3_S2_PKT4_llS5_PT5_ll16rocsparse_order_21rocsparse_index_base_b,comdat
.Lfunc_end14:
	.size	_ZN9rocsparseL29bsrmm_general_blockdim_kernelILj32ELj32EllDF16_DF16_ffEEvb20rocsparse_direction_T2_S2_llNS_24const_host_device_scalarIT6_EEPKT1_PKS2_PKT3_S2_PKT4_llS5_PT5_ll16rocsparse_order_21rocsparse_index_base_b, .Lfunc_end14-_ZN9rocsparseL29bsrmm_general_blockdim_kernelILj32ELj32EllDF16_DF16_ffEEvb20rocsparse_direction_T2_S2_llNS_24const_host_device_scalarIT6_EEPKT1_PKS2_PKT3_S2_PKT4_llS5_PT5_ll16rocsparse_order_21rocsparse_index_base_b
                                        ; -- End function
	.section	.AMDGPU.csdata,"",@progbits
; Kernel info:
; codeLenInByte = 2308
; NumSgprs: 66
; NumVgprs: 52
; NumAgprs: 0
; TotalNumVgprs: 52
; ScratchSize: 0
; MemoryBound: 0
; FloatMode: 240
; IeeeMode: 1
; LDSByteSize: 8192 bytes/workgroup (compile time only)
; SGPRBlocks: 8
; VGPRBlocks: 6
; NumSGPRsForWavesPerEU: 66
; NumVGPRsForWavesPerEU: 52
; AccumOffset: 52
; Occupancy: 8
; WaveLimiterHint : 1
; COMPUTE_PGM_RSRC2:SCRATCH_EN: 0
; COMPUTE_PGM_RSRC2:USER_SGPR: 6
; COMPUTE_PGM_RSRC2:TRAP_HANDLER: 0
; COMPUTE_PGM_RSRC2:TGID_X_EN: 1
; COMPUTE_PGM_RSRC2:TGID_Y_EN: 1
; COMPUTE_PGM_RSRC2:TGID_Z_EN: 0
; COMPUTE_PGM_RSRC2:TIDIG_COMP_CNT: 1
; COMPUTE_PGM_RSRC3_GFX90A:ACCUM_OFFSET: 12
; COMPUTE_PGM_RSRC3_GFX90A:TG_SPLIT: 0
	.section	.text._ZN9rocsparseL29bsrmm_general_blockdim_kernelILj32ELj32EiiaaiiEEvb20rocsparse_direction_T2_S2_llNS_24const_host_device_scalarIT6_EEPKT1_PKS2_PKT3_S2_PKT4_llS5_PT5_ll16rocsparse_order_21rocsparse_index_base_b,"axG",@progbits,_ZN9rocsparseL29bsrmm_general_blockdim_kernelILj32ELj32EiiaaiiEEvb20rocsparse_direction_T2_S2_llNS_24const_host_device_scalarIT6_EEPKT1_PKS2_PKT3_S2_PKT4_llS5_PT5_ll16rocsparse_order_21rocsparse_index_base_b,comdat
	.globl	_ZN9rocsparseL29bsrmm_general_blockdim_kernelILj32ELj32EiiaaiiEEvb20rocsparse_direction_T2_S2_llNS_24const_host_device_scalarIT6_EEPKT1_PKS2_PKT3_S2_PKT4_llS5_PT5_ll16rocsparse_order_21rocsparse_index_base_b ; -- Begin function _ZN9rocsparseL29bsrmm_general_blockdim_kernelILj32ELj32EiiaaiiEEvb20rocsparse_direction_T2_S2_llNS_24const_host_device_scalarIT6_EEPKT1_PKS2_PKT3_S2_PKT4_llS5_PT5_ll16rocsparse_order_21rocsparse_index_base_b
	.p2align	8
	.type	_ZN9rocsparseL29bsrmm_general_blockdim_kernelILj32ELj32EiiaaiiEEvb20rocsparse_direction_T2_S2_llNS_24const_host_device_scalarIT6_EEPKT1_PKS2_PKT3_S2_PKT4_llS5_PT5_ll16rocsparse_order_21rocsparse_index_base_b,@function
_ZN9rocsparseL29bsrmm_general_blockdim_kernelILj32ELj32EiiaaiiEEvb20rocsparse_direction_T2_S2_llNS_24const_host_device_scalarIT6_EEPKT1_PKS2_PKT3_S2_PKT4_llS5_PT5_ll16rocsparse_order_21rocsparse_index_base_b: ; @_ZN9rocsparseL29bsrmm_general_blockdim_kernelILj32ELj32EiiaaiiEEvb20rocsparse_direction_T2_S2_llNS_24const_host_device_scalarIT6_EEPKT1_PKS2_PKT3_S2_PKT4_llS5_PT5_ll16rocsparse_order_21rocsparse_index_base_b
; %bb.0:
	s_load_dwordx4 s[8:11], s[4:5], 0x80
	s_load_dwordx2 s[12:13], s[4:5], 0x20
	s_mov_b32 s0, s7
	s_mov_b64 s[14:15], -1
                                        ; implicit-def: $sgpr33
	s_waitcnt lgkmcnt(0)
	s_bitcmp1_b32 s10, 0
	s_cselect_b64 s[2:3], -1, 0
	s_xor_b64 s[10:11], s[2:3], -1
	s_and_b64 vcc, exec, s[10:11]
	s_cbranch_vccnz .LBB15_4
; %bb.1:
	s_load_dwordx2 s[2:3], s[4:5], 0x60
	s_andn2_b64 vcc, exec, s[14:15]
	s_cbranch_vccz .LBB15_5
.LBB15_2:
	s_and_b64 vcc, exec, s[10:11]
	s_cbranch_vccz .LBB15_6
.LBB15_3:
	s_waitcnt lgkmcnt(0)
	s_load_dword s38, s[2:3], 0x0
	s_cbranch_execz .LBB15_7
	s_branch .LBB15_8
.LBB15_4:
	s_load_dword s33, s[12:13], 0x0
	s_load_dwordx2 s[2:3], s[4:5], 0x60
	s_cbranch_execnz .LBB15_2
.LBB15_5:
	s_waitcnt lgkmcnt(0)
	s_mov_b32 s33, s12
	s_and_b64 vcc, exec, s[10:11]
	s_cbranch_vccnz .LBB15_3
.LBB15_6:
                                        ; implicit-def: $sgpr38
.LBB15_7:
	s_waitcnt lgkmcnt(0)
	s_mov_b32 s38, s2
.LBB15_8:
	s_waitcnt lgkmcnt(0)
	s_cmp_eq_u32 s33, 0
	s_cselect_b64 s[2:3], -1, 0
	s_cmp_eq_u32 s38, 1
	s_cselect_b64 s[10:11], -1, 0
	s_and_b64 s[2:3], s[2:3], s[10:11]
	s_mov_b32 s39, 0
	s_and_b64 vcc, exec, s[2:3]
	s_cbranch_vccnz .LBB15_61
; %bb.9:
	s_load_dwordx4 s[24:27], s[4:5], 0x0
	s_load_dwordx2 s[10:11], s[4:5], 0x28
	s_waitcnt lgkmcnt(0)
	s_cmp_lt_i32 s6, s26
	s_cselect_b64 s[2:3], -1, 0
	s_cmp_ge_i32 s6, s26
	s_cbranch_scc0 .LBB15_12
; %bb.10:
	s_andn2_b64 vcc, exec, s[2:3]
	s_mov_b32 s40, 0
	s_cbranch_vccz .LBB15_13
.LBB15_11:
	s_load_dword s41, s[4:5], 0x40
	s_waitcnt lgkmcnt(0)
	s_cmp_lt_i32 s41, 1
	s_cbranch_scc0 .LBB15_14
	s_branch .LBB15_61
.LBB15_12:
	s_ashr_i32 s7, s6, 31
	s_lshl_b64 s[12:13], s[6:7], 2
	s_add_u32 s12, s10, s12
	s_addc_u32 s13, s11, s13
	s_load_dword s1, s[12:13], 0x0
	s_waitcnt lgkmcnt(0)
	s_sub_i32 s39, s1, s9
	s_andn2_b64 vcc, exec, s[2:3]
	s_mov_b32 s40, 0
	s_cbranch_vccnz .LBB15_11
.LBB15_13:
	s_ashr_i32 s7, s6, 31
	s_lshl_b64 s[12:13], s[6:7], 2
	s_add_u32 s10, s10, s12
	s_addc_u32 s11, s11, s13
	s_load_dword s1, s[10:11], 0x4
	s_waitcnt lgkmcnt(0)
	s_sub_i32 s40, s1, s9
	s_load_dword s41, s[4:5], 0x40
	s_waitcnt lgkmcnt(0)
	s_cmp_lt_i32 s41, 1
	s_cbranch_scc1 .LBB15_61
.LBB15_14:
	s_load_dwordx4 s[12:15], s[4:5], 0x68
	s_load_dwordx4 s[16:19], s[4:5], 0x30
	;; [unrolled: 1-line block ×3, first 2 shown]
	v_and_b32_e32 v1, 0x3ff, v0
	v_bfe_u32 v0, v0, 10, 10
	s_bitcmp1_b32 s24, 0
	v_lshl_add_u32 v6, s0, 5, v0
	v_lshlrev_b32_e32 v4, 5, v0
	s_cselect_b64 s[4:5], -1, 0
	v_ashrrev_i32_e32 v7, 31, v6
	v_add_lshl_u32 v12, v4, v1, 2
	s_waitcnt lgkmcnt(0)
	v_pk_mov_b32 v[4:5], s[20:21], s[20:21] op_sel:[0,1]
	s_xor_b64 s[10:11], s[4:5], -1
	s_mul_i32 s42, s6, s41
	v_mov_b32_e32 v3, s21
	v_add_co_u32_e32 v2, vcc, s20, v6
	v_mul_lo_u32 v8, v7, s22
	v_mul_lo_u32 v9, v6, s23
	v_mad_u64_u32 v[4:5], s[6:7], v6, s22, v[4:5]
	s_cmp_lt_i32 s39, s40
	v_addc_co_u32_e32 v3, vcc, v3, v7, vcc
	v_add3_u32 v5, v8, v5, v9
	v_lshlrev_b64 v[8:9], 2, v[6:7]
	s_cselect_b64 s[4:5], -1, 0
	v_cmp_gt_i32_e64 s[0:1], s27, v6
	s_cmp_lg_u32 s25, 0
	v_mov_b32_e32 v10, s13
	v_add_co_u32_e32 v14, vcc, s12, v8
	s_cselect_b64 s[6:7], -1, 0
	s_and_b64 s[20:21], s[2:3], s[0:1]
	v_addc_co_u32_e32 v15, vcc, v10, v9, vcc
	v_mul_lo_u32 v8, v7, s14
	v_mul_lo_u32 v9, v6, s15
	v_mad_u64_u32 v[6:7], s[2:3], v6, s14, 0
	v_add3_u32 v7, v7, v9, v8
	v_lshlrev_b64 v[6:7], 2, v[6:7]
	v_add_co_u32_e32 v16, vcc, s12, v6
	v_mov_b32_e32 v6, 0x1000
	s_mul_i32 s2, s39, s41
	v_lshl_add_u32 v19, v0, 7, v6
	v_add_u32_e32 v6, s2, v1
	s_cmp_lg_u32 s38, 0
	v_addc_co_u32_e32 v17, vcc, v10, v7, vcc
	v_mad_u64_u32 v[6:7], s[2:3], s41, v6, v[0:1]
	s_cselect_b64 s[24:25], -1, 0
	s_cmp_lg_u32 s8, 1
	v_cndmask_b32_e64 v7, 0, 1, s[4:5]
	v_add_u32_e32 v13, 0x1000, v12
	s_mov_b32 s43, 0
	s_cselect_b64 s[26:27], -1, 0
	v_lshlrev_b32_e32 v18, 2, v1
	s_lshl_b32 s8, s41, 5
	s_mul_i32 s44, s41, s41
	v_cmp_ne_u32_e64 s[2:3], 1, v7
	s_branch .LBB15_16
.LBB15_15:                              ;   in Loop: Header=BB15_16 Depth=1
	s_or_b64 exec, exec, s[4:5]
	s_add_i32 s43, s43, 32
	s_cmp_lt_i32 s43, s41
	v_add_u32_e32 v6, s8, v6
	s_cbranch_scc0 .LBB15_61
.LBB15_16:                              ; =>This Loop Header: Depth=1
                                        ;     Child Loop BB15_19 Depth 2
                                        ;       Child Loop BB15_21 Depth 3
	v_add_u32_e32 v8, s43, v1
	s_and_b64 vcc, exec, s[2:3]
	v_mov_b32_e32 v7, 0
	v_cmp_gt_i32_e64 s[4:5], s41, v8
	s_cbranch_vccnz .LBB15_49
; %bb.17:                               ;   in Loop: Header=BB15_16 Depth=1
	v_mov_b32_e32 v7, 0
	v_mov_b32_e32 v9, v6
	s_mov_b32 s12, s39
	s_branch .LBB15_19
.LBB15_18:                              ;   in Loop: Header=BB15_19 Depth=2
	s_add_i32 s12, s12, 1
	s_cmp_ge_i32 s12, s40
	v_add_u32_e32 v9, s44, v9
	s_cbranch_scc1 .LBB15_49
.LBB15_19:                              ;   Parent Loop BB15_16 Depth=1
                                        ; =>  This Loop Header: Depth=2
                                        ;       Child Loop BB15_21 Depth 3
	s_ashr_i32 s13, s12, 31
	s_lshl_b64 s[28:29], s[12:13], 2
	s_add_u32 s28, s16, s28
	s_addc_u32 s29, s17, s29
	s_load_dword s28, s[28:29], 0x0
	s_mul_i32 s13, s12, s41
	s_mov_b32 s45, 0
	s_waitcnt lgkmcnt(0)
	s_sub_i32 s28, s28, s9
	s_mul_i32 s28, s28, s41
	v_add_u32_e32 v20, s28, v1
	s_branch .LBB15_21
.LBB15_20:                              ;   in Loop: Header=BB15_21 Depth=3
	s_or_b64 exec, exec, s[30:31]
	s_waitcnt vmcnt(0)
	ds_write_b32 v12, v11
	s_waitcnt lgkmcnt(0)
	s_barrier
	ds_read2_b32 v[10:11], v18 offset1:32
	ds_read2_b32 v[38:39], v18 offset0:64 offset1:96
	ds_read_b128 v[22:25], v19
	ds_read_b128 v[26:29], v19 offset:16
	ds_read_b128 v[30:33], v19 offset:32
	;; [unrolled: 1-line block ×3, first 2 shown]
	ds_read2_b32 v[40:41], v18 offset0:192 offset1:224
	ds_read2_b32 v[44:45], v18 offset0:128 offset1:160
	s_waitcnt lgkmcnt(5)
	v_mul_lo_u32 v21, v24, v38
	v_mul_lo_u32 v52, v22, v10
	;; [unrolled: 1-line block ×3, first 2 shown]
	s_waitcnt lgkmcnt(1)
	v_mul_lo_u32 v54, v28, v40
	s_waitcnt lgkmcnt(0)
	v_mul_lo_u32 v55, v26, v44
	v_add_u32_e32 v26, 0x400, v18
	ds_read2_b32 v[24:25], v26 offset0:64 offset1:96
	ds_read2_b32 v[46:47], v26 offset1:32
	v_mul_lo_u32 v22, v29, v41
	ds_read2_b32 v[28:29], v26 offset0:192 offset1:224
	ds_read2_b32 v[48:49], v26 offset0:128 offset1:160
	v_mad_u64_u32 v[10:11], s[28:29], v23, v11, v[10:11]
	s_waitcnt lgkmcnt(3)
	v_mul_lo_u32 v56, v32, v24
	s_waitcnt lgkmcnt(1)
	v_mul_lo_u32 v58, v36, v28
	v_add_u32_e32 v28, 0x800, v18
	v_mul_lo_u32 v57, v30, v46
	v_mul_lo_u32 v26, v33, v25
	;; [unrolled: 1-line block ×3, first 2 shown]
	ds_read2_b32 v[32:33], v28 offset1:32
	ds_read2_b32 v[24:25], v28 offset0:64 offset1:96
	ds_read2_b32 v[50:51], v28 offset0:128 offset1:160
	ds_read_b128 v[36:39], v19 offset:64
	ds_read2_b32 v[28:29], v28 offset0:192 offset1:224
	ds_read_b128 v[40:43], v19 offset:80
	s_waitcnt lgkmcnt(6)
	v_mul_lo_u32 v48, v34, v48
	v_add3_u32 v21, v52, v21, v10
	s_waitcnt lgkmcnt(2)
	v_mul_lo_u32 v59, v38, v24
	v_mul_lo_u32 v36, v36, v32
	s_waitcnt lgkmcnt(0)
	v_mul_lo_u32 v40, v40, v50
	v_add_u32_e32 v50, 0xc00, v18
	v_mul_lo_u32 v32, v39, v25
	v_mul_lo_u32 v60, v42, v28
	;; [unrolled: 1-line block ×3, first 2 shown]
	v_mad_u64_u32 v[38:39], s[28:29], v27, v45, v[22:23]
	ds_read2_b32 v[42:43], v50 offset0:64 offset1:96
	ds_read_b128 v[22:25], v19 offset:96
	v_mad_u64_u32 v[44:45], s[28:29], v31, v47, v[26:27]
	ds_read2_b32 v[46:47], v50 offset1:32
	ds_read_b128 v[26:29], v19 offset:112
	ds_read2_b32 v[10:11], v50 offset0:192 offset1:224
	ds_read2_b32 v[52:53], v50 offset0:128 offset1:160
	s_waitcnt lgkmcnt(4)
	v_mul_lo_u32 v31, v24, v42
	v_add3_u32 v24, v55, v54, v38
	s_waitcnt lgkmcnt(3)
	v_mul_lo_u32 v38, v22, v46
	s_waitcnt lgkmcnt(1)
	v_mul_lo_u32 v28, v28, v10
	v_mul_lo_u32 v10, v29, v11
	v_add3_u32 v11, v57, v56, v44
	v_mul_lo_u32 v22, v25, v43
	v_add3_u32 v11, v21, v24, v11
	v_mad_u64_u32 v[24:25], s[28:29], v35, v49, v[30:31]
	v_add3_u32 v21, v48, v58, v24
	v_mad_u64_u32 v[24:25], s[28:29], v37, v33, v[32:33]
	v_add3_u32 v24, v36, v59, v24
	v_add3_u32 v11, v11, v21, v24
	v_mad_u64_u32 v[24:25], s[28:29], v41, v51, v[34:35]
	v_mad_u64_u32 v[22:23], s[28:29], v23, v47, v[22:23]
	v_add3_u32 v21, v40, v60, v24
	v_add3_u32 v22, v38, v31, v22
	s_waitcnt lgkmcnt(0)
	v_mul_lo_u32 v26, v26, v52
	v_add3_u32 v21, v11, v21, v22
	v_mad_u64_u32 v[10:11], s[28:29], v27, v53, v[10:11]
	v_add3_u32 v10, v26, v28, v10
	s_add_i32 s45, s45, 32
	v_add3_u32 v7, v21, v10, v7
	s_cmp_ge_i32 s45, s41
	s_barrier
	s_cbranch_scc1 .LBB15_18
.LBB15_21:                              ;   Parent Loop BB15_16 Depth=1
                                        ;     Parent Loop BB15_19 Depth=2
                                        ; =>    This Inner Loop Header: Depth=3
	s_and_b64 vcc, exec, s[10:11]
	s_cbranch_vccz .LBB15_27
; %bb.22:                               ;   in Loop: Header=BB15_21 Depth=3
	s_mov_b64 s[30:31], 0
	s_mov_b64 s[28:29], 0
                                        ; implicit-def: $vgpr10_vgpr11
	s_and_saveexec_b64 s[34:35], s[0:1]
	s_cbranch_execz .LBB15_26
; %bb.23:                               ;   in Loop: Header=BB15_21 Depth=3
	v_add_u32_e32 v10, s45, v1
	v_cmp_gt_i32_e32 vcc, s41, v10
                                        ; implicit-def: $vgpr10_vgpr11
	s_and_saveexec_b64 s[36:37], vcc
	s_xor_b64 s[36:37], exec, s[36:37]
; %bb.24:                               ;   in Loop: Header=BB15_21 Depth=3
	v_add_u32_e32 v10, s45, v20
	v_ashrrev_i32_e32 v11, 31, v10
	v_mul_lo_u32 v21, v11, s22
	v_mul_lo_u32 v22, v10, s23
	v_mad_u64_u32 v[10:11], s[46:47], v10, s22, v[2:3]
	s_mov_b64 s[28:29], exec
	v_add3_u32 v11, v21, v11, v22
; %bb.25:                               ;   in Loop: Header=BB15_21 Depth=3
	s_or_b64 exec, exec, s[36:37]
	s_and_b64 s[28:29], s[28:29], exec
.LBB15_26:                              ;   in Loop: Header=BB15_21 Depth=3
	s_or_b64 exec, exec, s[34:35]
	s_mov_b32 s34, 0
	s_and_b64 vcc, exec, s[30:31]
	s_cbranch_vccnz .LBB15_28
	s_branch .LBB15_33
.LBB15_27:                              ;   in Loop: Header=BB15_21 Depth=3
	s_mov_b64 s[28:29], 0
                                        ; implicit-def: $vgpr10_vgpr11
                                        ; implicit-def: $sgpr34
	s_cbranch_execz .LBB15_33
.LBB15_28:                              ;   in Loop: Header=BB15_21 Depth=3
                                        ; implicit-def: $vgpr10_vgpr11
	s_and_saveexec_b64 s[30:31], s[0:1]
	s_cbranch_execz .LBB15_32
; %bb.29:                               ;   in Loop: Header=BB15_21 Depth=3
	v_add_u32_e32 v10, s45, v1
	v_cmp_gt_i32_e32 vcc, s41, v10
	s_mov_b64 s[36:37], s[28:29]
                                        ; implicit-def: $vgpr10_vgpr11
	s_and_saveexec_b64 s[34:35], vcc
; %bb.30:                               ;   in Loop: Header=BB15_21 Depth=3
	v_add_u32_e32 v10, s45, v20
	v_ashrrev_i32_e32 v11, 31, v10
	v_add_co_u32_e32 v10, vcc, v4, v10
	v_addc_co_u32_e32 v11, vcc, v5, v11, vcc
	s_or_b64 s[36:37], s[28:29], exec
; %bb.31:                               ;   in Loop: Header=BB15_21 Depth=3
	s_or_b64 exec, exec, s[34:35]
	s_andn2_b64 s[28:29], s[28:29], exec
	s_and_b64 s[34:35], s[36:37], exec
	s_or_b64 s[28:29], s[28:29], s[34:35]
.LBB15_32:                              ;   in Loop: Header=BB15_21 Depth=3
	s_or_b64 exec, exec, s[30:31]
	s_mov_b32 s34, 0
.LBB15_33:                              ;   in Loop: Header=BB15_21 Depth=3
	v_mov_b32_e32 v21, s34
	s_and_saveexec_b64 s[30:31], s[28:29]
	s_cbranch_execnz .LBB15_41
; %bb.34:                               ;   in Loop: Header=BB15_21 Depth=3
	s_or_b64 exec, exec, s[30:31]
	s_and_b64 vcc, exec, s[6:7]
	ds_write_b32 v13, v21
	s_cbranch_vccz .LBB15_42
.LBB15_35:                              ;   in Loop: Header=BB15_21 Depth=3
	s_mov_b64 s[30:31], 0
	s_mov_b64 s[28:29], 0
                                        ; implicit-def: $vgpr10
	s_and_saveexec_b64 s[34:35], s[4:5]
	s_cbranch_execz .LBB15_39
; %bb.36:                               ;   in Loop: Header=BB15_21 Depth=3
	v_add_u32_e32 v11, s45, v0
	v_cmp_gt_i32_e32 vcc, s41, v11
                                        ; implicit-def: $vgpr10
	s_and_saveexec_b64 s[36:37], vcc
	s_xor_b64 s[36:37], exec, s[36:37]
; %bb.37:                               ;   in Loop: Header=BB15_21 Depth=3
	v_add_u32_e32 v10, s13, v11
	s_mov_b64 s[28:29], exec
	v_mad_u64_u32 v[10:11], s[46:47], v10, s41, v[8:9]
; %bb.38:                               ;   in Loop: Header=BB15_21 Depth=3
	s_or_b64 exec, exec, s[36:37]
	s_and_b64 s[28:29], s[28:29], exec
.LBB15_39:                              ;   in Loop: Header=BB15_21 Depth=3
	s_or_b64 exec, exec, s[34:35]
	s_mov_b32 s34, 0
	s_and_b64 vcc, exec, s[30:31]
	s_cbranch_vccnz .LBB15_43
.LBB15_40:                              ;   in Loop: Header=BB15_21 Depth=3
	v_mov_b32_e32 v11, s34
	s_and_saveexec_b64 s[30:31], s[28:29]
	s_cbranch_execz .LBB15_20
	s_branch .LBB15_48
.LBB15_41:                              ;   in Loop: Header=BB15_21 Depth=3
	global_load_sbyte v21, v[10:11], off
	s_or_b64 exec, exec, s[30:31]
	s_and_b64 vcc, exec, s[6:7]
	s_waitcnt vmcnt(0)
	ds_write_b32 v13, v21
	s_cbranch_vccnz .LBB15_35
.LBB15_42:                              ;   in Loop: Header=BB15_21 Depth=3
	s_mov_b64 s[28:29], 0
                                        ; implicit-def: $vgpr10
                                        ; implicit-def: $sgpr34
	s_cbranch_execz .LBB15_40
.LBB15_43:                              ;   in Loop: Header=BB15_21 Depth=3
                                        ; implicit-def: $vgpr10
	s_and_saveexec_b64 s[30:31], s[4:5]
	s_cbranch_execz .LBB15_47
; %bb.44:                               ;   in Loop: Header=BB15_21 Depth=3
	v_add_u32_e32 v10, s45, v0
	v_cmp_gt_i32_e32 vcc, s41, v10
	s_mov_b64 s[34:35], s[28:29]
                                        ; implicit-def: $vgpr10
	s_and_saveexec_b64 s[36:37], vcc
; %bb.45:                               ;   in Loop: Header=BB15_21 Depth=3
	v_add_u32_e32 v10, s45, v9
	s_or_b64 s[34:35], s[28:29], exec
; %bb.46:                               ;   in Loop: Header=BB15_21 Depth=3
	s_or_b64 exec, exec, s[36:37]
	s_andn2_b64 s[28:29], s[28:29], exec
	s_and_b64 s[34:35], s[34:35], exec
	s_or_b64 s[28:29], s[28:29], s[34:35]
.LBB15_47:                              ;   in Loop: Header=BB15_21 Depth=3
	s_or_b64 exec, exec, s[30:31]
	s_mov_b32 s34, 0
	v_mov_b32_e32 v11, s34
	s_and_saveexec_b64 s[30:31], s[28:29]
	s_cbranch_execz .LBB15_20
.LBB15_48:                              ;   in Loop: Header=BB15_21 Depth=3
	v_ashrrev_i32_e32 v11, 31, v10
	v_mov_b32_e32 v21, s19
	v_add_co_u32_e32 v10, vcc, s18, v10
	v_addc_co_u32_e32 v11, vcc, v21, v11, vcc
	global_load_sbyte v11, v[10:11], off
	s_branch .LBB15_20
.LBB15_49:                              ;   in Loop: Header=BB15_16 Depth=1
	v_cmp_gt_i32_e32 vcc, s41, v8
	s_and_b64 s[12:13], s[20:21], vcc
	s_and_saveexec_b64 s[4:5], s[12:13]
	s_cbranch_execz .LBB15_15
; %bb.50:                               ;   in Loop: Header=BB15_16 Depth=1
	v_add_u32_e32 v8, s42, v8
	s_and_b64 vcc, exec, s[24:25]
	v_ashrrev_i32_e32 v9, 31, v8
	s_mov_b64 s[12:13], -1
	s_cbranch_vccz .LBB15_56
; %bb.51:                               ;   in Loop: Header=BB15_16 Depth=1
	s_and_b64 vcc, exec, s[26:27]
	s_cbranch_vccz .LBB15_53
; %bb.52:                               ;   in Loop: Header=BB15_16 Depth=1
	v_mul_lo_u32 v20, v9, s14
	v_mul_lo_u32 v21, v8, s15
	v_mad_u64_u32 v[10:11], s[12:13], v8, s14, 0
	v_add3_u32 v11, v11, v21, v20
	v_lshlrev_b64 v[10:11], 2, v[10:11]
	v_add_co_u32_e32 v10, vcc, v14, v10
	v_addc_co_u32_e32 v11, vcc, v15, v11, vcc
	global_load_dword v21, v[10:11], off
	v_mul_lo_u32 v20, v7, s33
	s_waitcnt vmcnt(0)
	v_mad_u64_u32 v[20:21], s[12:13], v21, s38, v[20:21]
	global_store_dword v[10:11], v20, off
	s_mov_b64 s[12:13], 0
.LBB15_53:                              ;   in Loop: Header=BB15_16 Depth=1
	s_andn2_b64 vcc, exec, s[12:13]
	s_cbranch_vccnz .LBB15_55
; %bb.54:                               ;   in Loop: Header=BB15_16 Depth=1
	v_lshlrev_b64 v[10:11], 2, v[8:9]
	v_add_co_u32_e32 v10, vcc, v16, v10
	v_addc_co_u32_e32 v11, vcc, v17, v11, vcc
	global_load_dword v21, v[10:11], off
	v_mul_lo_u32 v20, v7, s33
	s_waitcnt vmcnt(0)
	v_mad_u64_u32 v[20:21], s[12:13], v21, s38, v[20:21]
	global_store_dword v[10:11], v20, off
.LBB15_55:                              ;   in Loop: Header=BB15_16 Depth=1
	s_mov_b64 s[12:13], 0
.LBB15_56:                              ;   in Loop: Header=BB15_16 Depth=1
	s_andn2_b64 vcc, exec, s[12:13]
	s_cbranch_vccnz .LBB15_15
; %bb.57:                               ;   in Loop: Header=BB15_16 Depth=1
	v_mul_lo_u32 v7, v7, s33
	s_mov_b64 s[12:13], -1
	s_and_b64 vcc, exec, s[26:27]
	s_cbranch_vccz .LBB15_59
; %bb.58:                               ;   in Loop: Header=BB15_16 Depth=1
	v_mul_lo_u32 v20, v9, s14
	v_mul_lo_u32 v21, v8, s15
	v_mad_u64_u32 v[10:11], s[12:13], v8, s14, 0
	v_add3_u32 v11, v11, v21, v20
	v_lshlrev_b64 v[10:11], 2, v[10:11]
	v_add_co_u32_e32 v10, vcc, v14, v10
	v_addc_co_u32_e32 v11, vcc, v15, v11, vcc
	global_store_dword v[10:11], v7, off
	s_mov_b64 s[12:13], 0
.LBB15_59:                              ;   in Loop: Header=BB15_16 Depth=1
	s_andn2_b64 vcc, exec, s[12:13]
	s_cbranch_vccnz .LBB15_15
; %bb.60:                               ;   in Loop: Header=BB15_16 Depth=1
	v_lshlrev_b64 v[8:9], 2, v[8:9]
	v_add_co_u32_e32 v8, vcc, v16, v8
	v_addc_co_u32_e32 v9, vcc, v17, v9, vcc
	global_store_dword v[8:9], v7, off
	s_branch .LBB15_15
.LBB15_61:
	s_endpgm
	.section	.rodata,"a",@progbits
	.p2align	6, 0x0
	.amdhsa_kernel _ZN9rocsparseL29bsrmm_general_blockdim_kernelILj32ELj32EiiaaiiEEvb20rocsparse_direction_T2_S2_llNS_24const_host_device_scalarIT6_EEPKT1_PKS2_PKT3_S2_PKT4_llS5_PT5_ll16rocsparse_order_21rocsparse_index_base_b
		.amdhsa_group_segment_fixed_size 8192
		.amdhsa_private_segment_fixed_size 0
		.amdhsa_kernarg_size 140
		.amdhsa_user_sgpr_count 6
		.amdhsa_user_sgpr_private_segment_buffer 1
		.amdhsa_user_sgpr_dispatch_ptr 0
		.amdhsa_user_sgpr_queue_ptr 0
		.amdhsa_user_sgpr_kernarg_segment_ptr 1
		.amdhsa_user_sgpr_dispatch_id 0
		.amdhsa_user_sgpr_flat_scratch_init 0
		.amdhsa_user_sgpr_kernarg_preload_length 0
		.amdhsa_user_sgpr_kernarg_preload_offset 0
		.amdhsa_user_sgpr_private_segment_size 0
		.amdhsa_uses_dynamic_stack 0
		.amdhsa_system_sgpr_private_segment_wavefront_offset 0
		.amdhsa_system_sgpr_workgroup_id_x 1
		.amdhsa_system_sgpr_workgroup_id_y 1
		.amdhsa_system_sgpr_workgroup_id_z 0
		.amdhsa_system_sgpr_workgroup_info 0
		.amdhsa_system_vgpr_workitem_id 1
		.amdhsa_next_free_vgpr 61
		.amdhsa_next_free_sgpr 48
		.amdhsa_accum_offset 64
		.amdhsa_reserve_vcc 1
		.amdhsa_reserve_flat_scratch 0
		.amdhsa_float_round_mode_32 0
		.amdhsa_float_round_mode_16_64 0
		.amdhsa_float_denorm_mode_32 3
		.amdhsa_float_denorm_mode_16_64 3
		.amdhsa_dx10_clamp 1
		.amdhsa_ieee_mode 1
		.amdhsa_fp16_overflow 0
		.amdhsa_tg_split 0
		.amdhsa_exception_fp_ieee_invalid_op 0
		.amdhsa_exception_fp_denorm_src 0
		.amdhsa_exception_fp_ieee_div_zero 0
		.amdhsa_exception_fp_ieee_overflow 0
		.amdhsa_exception_fp_ieee_underflow 0
		.amdhsa_exception_fp_ieee_inexact 0
		.amdhsa_exception_int_div_zero 0
	.end_amdhsa_kernel
	.section	.text._ZN9rocsparseL29bsrmm_general_blockdim_kernelILj32ELj32EiiaaiiEEvb20rocsparse_direction_T2_S2_llNS_24const_host_device_scalarIT6_EEPKT1_PKS2_PKT3_S2_PKT4_llS5_PT5_ll16rocsparse_order_21rocsparse_index_base_b,"axG",@progbits,_ZN9rocsparseL29bsrmm_general_blockdim_kernelILj32ELj32EiiaaiiEEvb20rocsparse_direction_T2_S2_llNS_24const_host_device_scalarIT6_EEPKT1_PKS2_PKT3_S2_PKT4_llS5_PT5_ll16rocsparse_order_21rocsparse_index_base_b,comdat
.Lfunc_end15:
	.size	_ZN9rocsparseL29bsrmm_general_blockdim_kernelILj32ELj32EiiaaiiEEvb20rocsparse_direction_T2_S2_llNS_24const_host_device_scalarIT6_EEPKT1_PKS2_PKT3_S2_PKT4_llS5_PT5_ll16rocsparse_order_21rocsparse_index_base_b, .Lfunc_end15-_ZN9rocsparseL29bsrmm_general_blockdim_kernelILj32ELj32EiiaaiiEEvb20rocsparse_direction_T2_S2_llNS_24const_host_device_scalarIT6_EEPKT1_PKS2_PKT3_S2_PKT4_llS5_PT5_ll16rocsparse_order_21rocsparse_index_base_b
                                        ; -- End function
	.section	.AMDGPU.csdata,"",@progbits
; Kernel info:
; codeLenInByte = 2216
; NumSgprs: 52
; NumVgprs: 61
; NumAgprs: 0
; TotalNumVgprs: 61
; ScratchSize: 0
; MemoryBound: 0
; FloatMode: 240
; IeeeMode: 1
; LDSByteSize: 8192 bytes/workgroup (compile time only)
; SGPRBlocks: 6
; VGPRBlocks: 7
; NumSGPRsForWavesPerEU: 52
; NumVGPRsForWavesPerEU: 61
; AccumOffset: 64
; Occupancy: 8
; WaveLimiterHint : 0
; COMPUTE_PGM_RSRC2:SCRATCH_EN: 0
; COMPUTE_PGM_RSRC2:USER_SGPR: 6
; COMPUTE_PGM_RSRC2:TRAP_HANDLER: 0
; COMPUTE_PGM_RSRC2:TGID_X_EN: 1
; COMPUTE_PGM_RSRC2:TGID_Y_EN: 1
; COMPUTE_PGM_RSRC2:TGID_Z_EN: 0
; COMPUTE_PGM_RSRC2:TIDIG_COMP_CNT: 1
; COMPUTE_PGM_RSRC3_GFX90A:ACCUM_OFFSET: 15
; COMPUTE_PGM_RSRC3_GFX90A:TG_SPLIT: 0
	.section	.text._ZN9rocsparseL29bsrmm_general_blockdim_kernelILj32ELj32EliaaiiEEvb20rocsparse_direction_T2_S2_llNS_24const_host_device_scalarIT6_EEPKT1_PKS2_PKT3_S2_PKT4_llS5_PT5_ll16rocsparse_order_21rocsparse_index_base_b,"axG",@progbits,_ZN9rocsparseL29bsrmm_general_blockdim_kernelILj32ELj32EliaaiiEEvb20rocsparse_direction_T2_S2_llNS_24const_host_device_scalarIT6_EEPKT1_PKS2_PKT3_S2_PKT4_llS5_PT5_ll16rocsparse_order_21rocsparse_index_base_b,comdat
	.globl	_ZN9rocsparseL29bsrmm_general_blockdim_kernelILj32ELj32EliaaiiEEvb20rocsparse_direction_T2_S2_llNS_24const_host_device_scalarIT6_EEPKT1_PKS2_PKT3_S2_PKT4_llS5_PT5_ll16rocsparse_order_21rocsparse_index_base_b ; -- Begin function _ZN9rocsparseL29bsrmm_general_blockdim_kernelILj32ELj32EliaaiiEEvb20rocsparse_direction_T2_S2_llNS_24const_host_device_scalarIT6_EEPKT1_PKS2_PKT3_S2_PKT4_llS5_PT5_ll16rocsparse_order_21rocsparse_index_base_b
	.p2align	8
	.type	_ZN9rocsparseL29bsrmm_general_blockdim_kernelILj32ELj32EliaaiiEEvb20rocsparse_direction_T2_S2_llNS_24const_host_device_scalarIT6_EEPKT1_PKS2_PKT3_S2_PKT4_llS5_PT5_ll16rocsparse_order_21rocsparse_index_base_b,@function
_ZN9rocsparseL29bsrmm_general_blockdim_kernelILj32ELj32EliaaiiEEvb20rocsparse_direction_T2_S2_llNS_24const_host_device_scalarIT6_EEPKT1_PKS2_PKT3_S2_PKT4_llS5_PT5_ll16rocsparse_order_21rocsparse_index_base_b: ; @_ZN9rocsparseL29bsrmm_general_blockdim_kernelILj32ELj32EliaaiiEEvb20rocsparse_direction_T2_S2_llNS_24const_host_device_scalarIT6_EEPKT1_PKS2_PKT3_S2_PKT4_llS5_PT5_ll16rocsparse_order_21rocsparse_index_base_b
; %bb.0:
	s_load_dwordx4 s[8:11], s[4:5], 0x80
	s_load_dwordx2 s[12:13], s[4:5], 0x20
	s_mov_b32 s0, s7
	s_mov_b64 s[14:15], -1
                                        ; implicit-def: $sgpr33
	s_waitcnt lgkmcnt(0)
	s_bitcmp1_b32 s10, 0
	s_cselect_b64 s[2:3], -1, 0
	s_xor_b64 s[10:11], s[2:3], -1
	s_and_b64 vcc, exec, s[10:11]
	s_cbranch_vccnz .LBB16_4
; %bb.1:
	s_load_dwordx2 s[2:3], s[4:5], 0x60
	s_andn2_b64 vcc, exec, s[14:15]
	s_cbranch_vccz .LBB16_5
.LBB16_2:
	s_and_b64 vcc, exec, s[10:11]
	s_cbranch_vccz .LBB16_6
.LBB16_3:
	s_waitcnt lgkmcnt(0)
	s_load_dword s42, s[2:3], 0x0
	s_cbranch_execz .LBB16_7
	s_branch .LBB16_8
.LBB16_4:
	s_load_dword s33, s[12:13], 0x0
	s_load_dwordx2 s[2:3], s[4:5], 0x60
	s_cbranch_execnz .LBB16_2
.LBB16_5:
	s_waitcnt lgkmcnt(0)
	s_mov_b32 s33, s12
	s_and_b64 vcc, exec, s[10:11]
	s_cbranch_vccnz .LBB16_3
.LBB16_6:
                                        ; implicit-def: $sgpr42
.LBB16_7:
	s_waitcnt lgkmcnt(0)
	s_mov_b32 s42, s2
.LBB16_8:
	s_waitcnt lgkmcnt(0)
	s_cmp_eq_u32 s33, 0
	s_cselect_b64 s[2:3], -1, 0
	s_cmp_eq_u32 s42, 1
	s_cselect_b64 s[10:11], -1, 0
	s_and_b64 s[2:3], s[2:3], s[10:11]
	s_and_b64 vcc, exec, s[2:3]
	s_cbranch_vccnz .LBB16_57
; %bb.9:
	s_load_dwordx4 s[24:27], s[4:5], 0x0
	s_load_dwordx2 s[12:13], s[4:5], 0x28
	s_mov_b64 s[10:11], 0
	s_mov_b64 s[28:29], 0
	s_waitcnt lgkmcnt(0)
	s_cmp_lt_i32 s6, s26
	s_cselect_b64 s[2:3], -1, 0
	s_cmp_ge_i32 s6, s26
	s_cbranch_scc0 .LBB16_12
; %bb.10:
	s_andn2_b64 vcc, exec, s[2:3]
	s_cbranch_vccz .LBB16_13
.LBB16_11:
	s_load_dword s43, s[4:5], 0x40
	s_waitcnt lgkmcnt(0)
	s_cmp_lt_i32 s43, 1
	s_cbranch_scc0 .LBB16_14
	s_branch .LBB16_57
.LBB16_12:
	s_ashr_i32 s7, s6, 31
	s_lshl_b64 s[14:15], s[6:7], 3
	s_add_u32 s14, s12, s14
	s_addc_u32 s15, s13, s15
	s_load_dwordx2 s[14:15], s[14:15], 0x0
	s_waitcnt lgkmcnt(0)
	s_sub_u32 s28, s14, s9
	s_subb_u32 s29, s15, 0
	s_andn2_b64 vcc, exec, s[2:3]
	s_cbranch_vccnz .LBB16_11
.LBB16_13:
	s_ashr_i32 s7, s6, 31
	s_lshl_b64 s[10:11], s[6:7], 3
	s_add_u32 s10, s12, s10
	s_addc_u32 s11, s13, s11
	s_load_dwordx2 s[10:11], s[10:11], 0x8
	s_waitcnt lgkmcnt(0)
	s_sub_u32 s10, s10, s9
	s_subb_u32 s11, s11, 0
	s_load_dword s43, s[4:5], 0x40
	s_waitcnt lgkmcnt(0)
	s_cmp_lt_i32 s43, 1
	s_cbranch_scc1 .LBB16_57
.LBB16_14:
	s_load_dwordx4 s[12:15], s[4:5], 0x68
	s_load_dwordx4 s[16:19], s[4:5], 0x30
	;; [unrolled: 1-line block ×3, first 2 shown]
	v_bfe_u32 v7, v0, 10, 10
	s_bitcmp1_b32 s24, 0
	v_and_b32_e32 v6, 0x3ff, v0
	s_cselect_b64 s[4:5], -1, 0
	v_lshl_add_u32 v4, s0, 5, v7
	v_lshlrev_b32_e32 v2, 5, v7
	s_xor_b64 s[30:31], s[4:5], -1
	v_ashrrev_i32_e32 v5, 31, v4
	v_add_lshl_u32 v8, v2, v6, 2
	s_waitcnt lgkmcnt(0)
	v_pk_mov_b32 v[2:3], s[20:21], s[20:21] op_sel:[0,1]
	v_cmp_gt_i32_e64 s[0:1], s27, v4
	v_mov_b32_e32 v1, s21
	v_add_co_u32_e32 v0, vcc, s20, v4
	v_mul_lo_u32 v10, v5, s22
	v_mul_lo_u32 v11, v4, s23
	v_mad_u64_u32 v[2:3], s[4:5], v4, s22, v[2:3]
	s_cmp_lg_u32 s25, 0
	s_mul_i32 s44, s6, s43
	v_addc_co_u32_e32 v1, vcc, v1, v5, vcc
	v_add3_u32 v3, v10, v3, v11
	s_cselect_b64 s[6:7], -1, 0
	s_and_b64 s[20:21], s[2:3], s[0:1]
	v_lshlrev_b64 v[10:11], 2, v[4:5]
	v_mul_lo_u32 v12, v5, s14
	v_mul_lo_u32 v14, v4, s15
	v_mad_u64_u32 v[4:5], s[2:3], v4, s14, 0
	v_mov_b32_e32 v13, s13
	v_add_co_u32_e32 v10, vcc, s12, v10
	v_add3_u32 v5, v5, v14, v12
	v_addc_co_u32_e32 v11, vcc, v13, v11, vcc
	v_lshlrev_b64 v[4:5], 2, v[4:5]
	v_add_co_u32_e32 v12, vcc, s12, v4
	v_pk_mov_b32 v[16:17], s[10:11], s[10:11] op_sel:[0,1]
	v_addc_co_u32_e32 v13, vcc, v13, v5, vcc
	s_cmp_lg_u32 s42, 0
	v_mov_b32_e32 v4, 0x1000
	v_cmp_lt_i64_e32 vcc, s[28:29], v[16:17]
	s_cselect_b64 s[24:25], -1, 0
	s_cmp_lg_u32 s8, 1
	v_lshl_add_u32 v15, v7, 7, v4
	v_cndmask_b32_e64 v4, 0, 1, vcc
	v_add_u32_e32 v9, 0x1000, v8
	s_mov_b32 s45, 0
	s_mul_i32 s46, s43, s43
	s_cselect_b64 s[26:27], -1, 0
	v_lshlrev_b32_e32 v14, 2, v6
	v_cmp_ne_u32_e64 s[2:3], 1, v4
	s_branch .LBB16_16
.LBB16_15:                              ;   in Loop: Header=BB16_16 Depth=1
	s_or_b64 exec, exec, s[4:5]
	s_add_i32 s45, s45, 32
	s_cmp_lt_i32 s45, s43
	s_cbranch_scc0 .LBB16_57
.LBB16_16:                              ; =>This Loop Header: Depth=1
                                        ;     Child Loop BB16_19 Depth 2
                                        ;       Child Loop BB16_21 Depth 3
	v_add_u32_e32 v17, s45, v6
	s_and_b64 vcc, exec, s[2:3]
	v_mov_b32_e32 v16, 0
	v_cmp_gt_i32_e64 s[4:5], s43, v17
	s_cbranch_vccnz .LBB16_45
; %bb.17:                               ;   in Loop: Header=BB16_16 Depth=1
	v_mul_lo_u32 v18, v17, s43
	v_mov_b32_e32 v16, 0
	s_mov_b64 s[12:13], s[28:29]
	s_branch .LBB16_19
.LBB16_18:                              ;   in Loop: Header=BB16_19 Depth=2
	s_add_u32 s12, s12, 1
	s_addc_u32 s13, s13, 0
	v_pk_mov_b32 v[4:5], s[10:11], s[10:11] op_sel:[0,1]
	v_cmp_ge_i64_e32 vcc, s[12:13], v[4:5]
	s_cbranch_vccnz .LBB16_45
.LBB16_19:                              ;   Parent Loop BB16_16 Depth=1
                                        ; =>  This Loop Header: Depth=2
                                        ;       Child Loop BB16_21 Depth 3
	s_lshl_b64 s[34:35], s[12:13], 2
	s_add_u32 s34, s16, s34
	s_addc_u32 s35, s17, s35
	s_load_dword s8, s[34:35], 0x0
	s_mul_i32 s34, s13, s46
	s_mul_hi_u32 s35, s12, s46
	s_mul_i32 s36, s12, s46
	s_add_i32 s35, s35, s34
	s_waitcnt lgkmcnt(0)
	s_sub_i32 s8, s8, s9
	s_mul_i32 s34, s8, s43
	s_add_u32 s8, s18, s36
	s_addc_u32 s47, s19, s35
	v_add_u32_e32 v19, s34, v6
	s_mov_b32 s48, 0
	s_branch .LBB16_21
.LBB16_20:                              ;   in Loop: Header=BB16_21 Depth=3
	s_or_b64 exec, exec, s[34:35]
	s_waitcnt vmcnt(0)
	ds_write_b32 v8, v20
	s_waitcnt lgkmcnt(0)
	s_barrier
	ds_read2_b32 v[4:5], v14 offset1:32
	ds_read2_b32 v[36:37], v14 offset0:64 offset1:96
	ds_read_b128 v[20:23], v15
	ds_read_b128 v[24:27], v15 offset:16
	ds_read_b128 v[28:31], v15 offset:32
	;; [unrolled: 1-line block ×3, first 2 shown]
	ds_read2_b32 v[38:39], v14 offset0:192 offset1:224
	ds_read2_b32 v[42:43], v14 offset0:128 offset1:160
	s_waitcnt lgkmcnt(5)
	v_mul_lo_u32 v50, v22, v36
	v_mul_lo_u32 v51, v20, v4
	;; [unrolled: 1-line block ×3, first 2 shown]
	s_waitcnt lgkmcnt(1)
	v_mul_lo_u32 v52, v26, v38
	s_waitcnt lgkmcnt(0)
	v_mul_lo_u32 v53, v24, v42
	v_add_u32_e32 v24, 0x400, v14
	ds_read2_b32 v[22:23], v24 offset0:64 offset1:96
	ds_read2_b32 v[44:45], v24 offset1:32
	v_mul_lo_u32 v20, v27, v39
	ds_read2_b32 v[26:27], v24 offset0:192 offset1:224
	ds_read2_b32 v[46:47], v24 offset0:128 offset1:160
	v_mad_u64_u32 v[4:5], s[34:35], v21, v5, v[4:5]
	s_waitcnt lgkmcnt(3)
	v_mul_lo_u32 v54, v30, v22
	s_waitcnt lgkmcnt(1)
	v_mul_lo_u32 v56, v34, v26
	v_add_u32_e32 v26, 0x800, v14
	v_mul_lo_u32 v55, v28, v44
	v_mul_lo_u32 v24, v31, v23
	v_mul_lo_u32 v28, v35, v27
	ds_read2_b32 v[30:31], v26 offset1:32
	ds_read2_b32 v[22:23], v26 offset0:64 offset1:96
	ds_read2_b32 v[48:49], v26 offset0:128 offset1:160
	ds_read_b128 v[34:37], v15 offset:64
	ds_read2_b32 v[26:27], v26 offset0:192 offset1:224
	ds_read_b128 v[38:41], v15 offset:80
	s_waitcnt lgkmcnt(6)
	v_mul_lo_u32 v46, v32, v46
	s_add_i32 s48, s48, 32
	s_waitcnt lgkmcnt(2)
	v_mul_lo_u32 v57, v36, v22
	v_mul_lo_u32 v34, v34, v30
	s_waitcnt lgkmcnt(0)
	v_mul_lo_u32 v38, v38, v48
	v_add_u32_e32 v48, 0xc00, v14
	v_mul_lo_u32 v30, v37, v23
	v_mul_lo_u32 v58, v40, v26
	;; [unrolled: 1-line block ×3, first 2 shown]
	v_mad_u64_u32 v[36:37], s[34:35], v25, v43, v[20:21]
	ds_read2_b32 v[40:41], v48 offset0:64 offset1:96
	ds_read_b128 v[20:23], v15 offset:96
	v_mad_u64_u32 v[42:43], s[34:35], v29, v45, v[24:25]
	ds_read2_b32 v[44:45], v48 offset1:32
	ds_read_b128 v[24:27], v15 offset:112
	v_add3_u32 v36, v53, v52, v36
	s_waitcnt lgkmcnt(2)
	v_mul_lo_u32 v29, v22, v40
	v_add3_u32 v22, v51, v50, v4
	ds_read2_b32 v[4:5], v48 offset0:192 offset1:224
	ds_read2_b32 v[50:51], v48 offset0:128 offset1:160
	s_waitcnt lgkmcnt(3)
	v_mul_lo_u32 v37, v20, v44
	v_mul_lo_u32 v20, v23, v41
	v_mad_u64_u32 v[20:21], s[34:35], v21, v45, v[20:21]
	s_waitcnt lgkmcnt(1)
	v_mul_lo_u32 v26, v26, v4
	v_mul_lo_u32 v4, v27, v5
	v_add3_u32 v5, v55, v54, v42
	v_add3_u32 v5, v22, v36, v5
	v_mad_u64_u32 v[22:23], s[34:35], v33, v47, v[28:29]
	v_add3_u32 v27, v46, v56, v22
	v_mad_u64_u32 v[22:23], s[34:35], v35, v31, v[30:31]
	v_add3_u32 v22, v34, v57, v22
	v_add3_u32 v5, v5, v27, v22
	v_mad_u64_u32 v[22:23], s[34:35], v39, v49, v[32:33]
	v_add3_u32 v22, v38, v58, v22
	v_add3_u32 v20, v37, v29, v20
	s_waitcnt lgkmcnt(0)
	v_mul_lo_u32 v24, v24, v50
	v_add3_u32 v20, v5, v22, v20
	v_mad_u64_u32 v[4:5], s[34:35], v25, v51, v[4:5]
	v_add3_u32 v4, v24, v26, v4
	v_add3_u32 v16, v20, v4, v16
	s_cmp_ge_i32 s48, s43
	s_barrier
	s_cbranch_scc1 .LBB16_18
.LBB16_21:                              ;   Parent Loop BB16_16 Depth=1
                                        ;     Parent Loop BB16_19 Depth=2
                                        ; =>    This Inner Loop Header: Depth=3
	s_and_b64 vcc, exec, s[30:31]
	s_cbranch_vccz .LBB16_27
; %bb.22:                               ;   in Loop: Header=BB16_21 Depth=3
	s_mov_b64 s[36:37], 0
	s_mov_b64 s[34:35], 0
                                        ; implicit-def: $vgpr4_vgpr5
	s_and_saveexec_b64 s[38:39], s[0:1]
	s_cbranch_execz .LBB16_26
; %bb.23:                               ;   in Loop: Header=BB16_21 Depth=3
	v_add_u32_e32 v4, s48, v6
	v_cmp_gt_i32_e32 vcc, s43, v4
                                        ; implicit-def: $vgpr4_vgpr5
	s_and_saveexec_b64 s[40:41], vcc
	s_xor_b64 s[40:41], exec, s[40:41]
; %bb.24:                               ;   in Loop: Header=BB16_21 Depth=3
	v_add_u32_e32 v4, s48, v19
	v_ashrrev_i32_e32 v5, 31, v4
	v_mul_lo_u32 v20, v5, s22
	v_mul_lo_u32 v21, v4, s23
	v_mad_u64_u32 v[4:5], s[50:51], v4, s22, v[0:1]
	s_mov_b64 s[34:35], exec
	v_add3_u32 v5, v20, v5, v21
; %bb.25:                               ;   in Loop: Header=BB16_21 Depth=3
	s_or_b64 exec, exec, s[40:41]
	s_and_b64 s[34:35], s[34:35], exec
.LBB16_26:                              ;   in Loop: Header=BB16_21 Depth=3
	s_or_b64 exec, exec, s[38:39]
	s_mov_b32 s38, 0
	s_and_b64 vcc, exec, s[36:37]
	s_cbranch_vccnz .LBB16_28
	s_branch .LBB16_33
.LBB16_27:                              ;   in Loop: Header=BB16_21 Depth=3
	s_mov_b64 s[34:35], 0
                                        ; implicit-def: $vgpr4_vgpr5
                                        ; implicit-def: $sgpr38
	s_cbranch_execz .LBB16_33
.LBB16_28:                              ;   in Loop: Header=BB16_21 Depth=3
                                        ; implicit-def: $vgpr4_vgpr5
	s_and_saveexec_b64 s[36:37], s[0:1]
	s_cbranch_execz .LBB16_32
; %bb.29:                               ;   in Loop: Header=BB16_21 Depth=3
	v_add_u32_e32 v4, s48, v6
	v_cmp_gt_i32_e32 vcc, s43, v4
	s_mov_b64 s[40:41], s[34:35]
                                        ; implicit-def: $vgpr4_vgpr5
	s_and_saveexec_b64 s[38:39], vcc
; %bb.30:                               ;   in Loop: Header=BB16_21 Depth=3
	v_add_u32_e32 v4, s48, v19
	v_ashrrev_i32_e32 v5, 31, v4
	v_add_co_u32_e32 v4, vcc, v2, v4
	v_addc_co_u32_e32 v5, vcc, v3, v5, vcc
	s_or_b64 s[40:41], s[34:35], exec
; %bb.31:                               ;   in Loop: Header=BB16_21 Depth=3
	s_or_b64 exec, exec, s[38:39]
	s_andn2_b64 s[34:35], s[34:35], exec
	s_and_b64 s[38:39], s[40:41], exec
	s_or_b64 s[34:35], s[34:35], s[38:39]
.LBB16_32:                              ;   in Loop: Header=BB16_21 Depth=3
	s_or_b64 exec, exec, s[36:37]
	s_mov_b32 s38, 0
.LBB16_33:                              ;   in Loop: Header=BB16_21 Depth=3
	v_mov_b32_e32 v20, s38
	s_and_saveexec_b64 s[36:37], s[34:35]
	s_cbranch_execnz .LBB16_43
; %bb.34:                               ;   in Loop: Header=BB16_21 Depth=3
	s_or_b64 exec, exec, s[36:37]
	s_and_b64 vcc, exec, s[6:7]
	ds_write_b32 v9, v20
	s_cbranch_vccz .LBB16_44
.LBB16_35:                              ;   in Loop: Header=BB16_21 Depth=3
	s_mov_b64 s[34:35], 0
	s_mov_b64 s[36:37], 0
                                        ; implicit-def: $vgpr4
	s_and_saveexec_b64 s[38:39], s[4:5]
	s_cbranch_execz .LBB16_39
; %bb.36:                               ;   in Loop: Header=BB16_21 Depth=3
	v_add_u32_e32 v5, s48, v7
	v_cmp_gt_i32_e32 vcc, s43, v5
                                        ; implicit-def: $vgpr4
	s_and_saveexec_b64 s[40:41], vcc
	s_xor_b64 s[40:41], exec, s[40:41]
; %bb.37:                               ;   in Loop: Header=BB16_21 Depth=3
	s_mov_b64 s[36:37], exec
	v_mul_lo_u32 v4, v5, s43
; %bb.38:                               ;   in Loop: Header=BB16_21 Depth=3
	s_or_b64 exec, exec, s[40:41]
	s_and_b64 s[36:37], s[36:37], exec
.LBB16_39:                              ;   in Loop: Header=BB16_21 Depth=3
	s_or_b64 exec, exec, s[38:39]
	s_mov_b32 s38, 0
	v_mov_b32_e32 v5, v17
	s_and_b64 vcc, exec, s[34:35]
	s_cbranch_vccz .LBB16_41
.LBB16_40:                              ;   in Loop: Header=BB16_21 Depth=3
	v_add_u32_e32 v4, s48, v7
	v_cmp_gt_i32_e32 vcc, s43, v4
	s_and_b64 s[34:35], s[4:5], vcc
	s_andn2_b64 s[36:37], s[36:37], exec
	s_and_b64 s[34:35], s[34:35], exec
	s_mov_b32 s38, 0
	s_or_b64 s[36:37], s[36:37], s[34:35]
	v_mov_b32_e32 v5, v18
.LBB16_41:                              ;   in Loop: Header=BB16_21 Depth=3
	v_mov_b32_e32 v20, s38
	s_and_saveexec_b64 s[34:35], s[36:37]
	s_cbranch_execz .LBB16_20
; %bb.42:                               ;   in Loop: Header=BB16_21 Depth=3
	v_ashrrev_i32_e32 v20, 31, v5
	v_mov_b32_e32 v21, s47
	v_add_co_u32_e32 v5, vcc, s8, v5
	v_addc_co_u32_e32 v20, vcc, v21, v20, vcc
	v_ashrrev_i32_e32 v21, 31, v4
	v_add_co_u32_e32 v4, vcc, v5, v4
	v_addc_co_u32_e32 v5, vcc, v20, v21, vcc
	global_load_sbyte v20, v[4:5], off
	s_branch .LBB16_20
.LBB16_43:                              ;   in Loop: Header=BB16_21 Depth=3
	global_load_sbyte v20, v[4:5], off
	s_or_b64 exec, exec, s[36:37]
	s_and_b64 vcc, exec, s[6:7]
	s_waitcnt vmcnt(0)
	ds_write_b32 v9, v20
	s_cbranch_vccnz .LBB16_35
.LBB16_44:                              ;   in Loop: Header=BB16_21 Depth=3
	s_mov_b64 s[36:37], 0
                                        ; implicit-def: $vgpr5
                                        ; implicit-def: $vgpr4
                                        ; implicit-def: $sgpr38
	s_cbranch_execnz .LBB16_40
	s_branch .LBB16_41
.LBB16_45:                              ;   in Loop: Header=BB16_16 Depth=1
	v_cmp_gt_i32_e32 vcc, s43, v17
	s_and_b64 s[12:13], s[20:21], vcc
	s_and_saveexec_b64 s[4:5], s[12:13]
	s_cbranch_execz .LBB16_15
; %bb.46:                               ;   in Loop: Header=BB16_16 Depth=1
	v_add_u32_e32 v4, s44, v17
	s_and_b64 vcc, exec, s[24:25]
	v_ashrrev_i32_e32 v5, 31, v4
	s_mov_b64 s[12:13], -1
	s_cbranch_vccz .LBB16_52
; %bb.47:                               ;   in Loop: Header=BB16_16 Depth=1
	s_and_b64 vcc, exec, s[26:27]
	s_cbranch_vccz .LBB16_49
; %bb.48:                               ;   in Loop: Header=BB16_16 Depth=1
	v_mul_lo_u32 v17, v5, s14
	v_mul_lo_u32 v20, v4, s15
	v_mad_u64_u32 v[18:19], s[12:13], v4, s14, 0
	v_add3_u32 v19, v19, v20, v17
	v_lshlrev_b64 v[18:19], 2, v[18:19]
	v_add_co_u32_e32 v18, vcc, v10, v18
	v_addc_co_u32_e32 v19, vcc, v11, v19, vcc
	global_load_dword v17, v[18:19], off
	v_mul_lo_u32 v20, v16, s33
	s_waitcnt vmcnt(0)
	v_mad_u64_u32 v[20:21], s[12:13], v17, s42, v[20:21]
	global_store_dword v[18:19], v20, off
	s_mov_b64 s[12:13], 0
.LBB16_49:                              ;   in Loop: Header=BB16_16 Depth=1
	s_andn2_b64 vcc, exec, s[12:13]
	s_cbranch_vccnz .LBB16_51
; %bb.50:                               ;   in Loop: Header=BB16_16 Depth=1
	v_lshlrev_b64 v[18:19], 2, v[4:5]
	v_add_co_u32_e32 v18, vcc, v12, v18
	v_addc_co_u32_e32 v19, vcc, v13, v19, vcc
	global_load_dword v17, v[18:19], off
	v_mul_lo_u32 v20, v16, s33
	s_waitcnt vmcnt(0)
	v_mad_u64_u32 v[20:21], s[12:13], v17, s42, v[20:21]
	global_store_dword v[18:19], v20, off
.LBB16_51:                              ;   in Loop: Header=BB16_16 Depth=1
	s_mov_b64 s[12:13], 0
.LBB16_52:                              ;   in Loop: Header=BB16_16 Depth=1
	s_andn2_b64 vcc, exec, s[12:13]
	s_cbranch_vccnz .LBB16_15
; %bb.53:                               ;   in Loop: Header=BB16_16 Depth=1
	v_mul_lo_u32 v16, v16, s33
	s_mov_b64 s[12:13], -1
	s_and_b64 vcc, exec, s[26:27]
	s_cbranch_vccz .LBB16_55
; %bb.54:                               ;   in Loop: Header=BB16_16 Depth=1
	v_mul_lo_u32 v17, v5, s14
	v_mul_lo_u32 v20, v4, s15
	v_mad_u64_u32 v[18:19], s[12:13], v4, s14, 0
	v_add3_u32 v19, v19, v20, v17
	v_lshlrev_b64 v[18:19], 2, v[18:19]
	v_add_co_u32_e32 v18, vcc, v10, v18
	v_addc_co_u32_e32 v19, vcc, v11, v19, vcc
	global_store_dword v[18:19], v16, off
	s_mov_b64 s[12:13], 0
.LBB16_55:                              ;   in Loop: Header=BB16_16 Depth=1
	s_andn2_b64 vcc, exec, s[12:13]
	s_cbranch_vccnz .LBB16_15
; %bb.56:                               ;   in Loop: Header=BB16_16 Depth=1
	v_lshlrev_b64 v[4:5], 2, v[4:5]
	v_add_co_u32_e32 v4, vcc, v12, v4
	v_addc_co_u32_e32 v5, vcc, v13, v5, vcc
	global_store_dword v[4:5], v16, off
	s_branch .LBB16_15
.LBB16_57:
	s_endpgm
	.section	.rodata,"a",@progbits
	.p2align	6, 0x0
	.amdhsa_kernel _ZN9rocsparseL29bsrmm_general_blockdim_kernelILj32ELj32EliaaiiEEvb20rocsparse_direction_T2_S2_llNS_24const_host_device_scalarIT6_EEPKT1_PKS2_PKT3_S2_PKT4_llS5_PT5_ll16rocsparse_order_21rocsparse_index_base_b
		.amdhsa_group_segment_fixed_size 8192
		.amdhsa_private_segment_fixed_size 0
		.amdhsa_kernarg_size 140
		.amdhsa_user_sgpr_count 6
		.amdhsa_user_sgpr_private_segment_buffer 1
		.amdhsa_user_sgpr_dispatch_ptr 0
		.amdhsa_user_sgpr_queue_ptr 0
		.amdhsa_user_sgpr_kernarg_segment_ptr 1
		.amdhsa_user_sgpr_dispatch_id 0
		.amdhsa_user_sgpr_flat_scratch_init 0
		.amdhsa_user_sgpr_kernarg_preload_length 0
		.amdhsa_user_sgpr_kernarg_preload_offset 0
		.amdhsa_user_sgpr_private_segment_size 0
		.amdhsa_uses_dynamic_stack 0
		.amdhsa_system_sgpr_private_segment_wavefront_offset 0
		.amdhsa_system_sgpr_workgroup_id_x 1
		.amdhsa_system_sgpr_workgroup_id_y 1
		.amdhsa_system_sgpr_workgroup_id_z 0
		.amdhsa_system_sgpr_workgroup_info 0
		.amdhsa_system_vgpr_workitem_id 1
		.amdhsa_next_free_vgpr 59
		.amdhsa_next_free_sgpr 52
		.amdhsa_accum_offset 60
		.amdhsa_reserve_vcc 1
		.amdhsa_reserve_flat_scratch 0
		.amdhsa_float_round_mode_32 0
		.amdhsa_float_round_mode_16_64 0
		.amdhsa_float_denorm_mode_32 3
		.amdhsa_float_denorm_mode_16_64 3
		.amdhsa_dx10_clamp 1
		.amdhsa_ieee_mode 1
		.amdhsa_fp16_overflow 0
		.amdhsa_tg_split 0
		.amdhsa_exception_fp_ieee_invalid_op 0
		.amdhsa_exception_fp_denorm_src 0
		.amdhsa_exception_fp_ieee_div_zero 0
		.amdhsa_exception_fp_ieee_overflow 0
		.amdhsa_exception_fp_ieee_underflow 0
		.amdhsa_exception_fp_ieee_inexact 0
		.amdhsa_exception_int_div_zero 0
	.end_amdhsa_kernel
	.section	.text._ZN9rocsparseL29bsrmm_general_blockdim_kernelILj32ELj32EliaaiiEEvb20rocsparse_direction_T2_S2_llNS_24const_host_device_scalarIT6_EEPKT1_PKS2_PKT3_S2_PKT4_llS5_PT5_ll16rocsparse_order_21rocsparse_index_base_b,"axG",@progbits,_ZN9rocsparseL29bsrmm_general_blockdim_kernelILj32ELj32EliaaiiEEvb20rocsparse_direction_T2_S2_llNS_24const_host_device_scalarIT6_EEPKT1_PKS2_PKT3_S2_PKT4_llS5_PT5_ll16rocsparse_order_21rocsparse_index_base_b,comdat
.Lfunc_end16:
	.size	_ZN9rocsparseL29bsrmm_general_blockdim_kernelILj32ELj32EliaaiiEEvb20rocsparse_direction_T2_S2_llNS_24const_host_device_scalarIT6_EEPKT1_PKS2_PKT3_S2_PKT4_llS5_PT5_ll16rocsparse_order_21rocsparse_index_base_b, .Lfunc_end16-_ZN9rocsparseL29bsrmm_general_blockdim_kernelILj32ELj32EliaaiiEEvb20rocsparse_direction_T2_S2_llNS_24const_host_device_scalarIT6_EEPKT1_PKS2_PKT3_S2_PKT4_llS5_PT5_ll16rocsparse_order_21rocsparse_index_base_b
                                        ; -- End function
	.section	.AMDGPU.csdata,"",@progbits
; Kernel info:
; codeLenInByte = 2204
; NumSgprs: 56
; NumVgprs: 59
; NumAgprs: 0
; TotalNumVgprs: 59
; ScratchSize: 0
; MemoryBound: 0
; FloatMode: 240
; IeeeMode: 1
; LDSByteSize: 8192 bytes/workgroup (compile time only)
; SGPRBlocks: 6
; VGPRBlocks: 7
; NumSGPRsForWavesPerEU: 56
; NumVGPRsForWavesPerEU: 59
; AccumOffset: 60
; Occupancy: 8
; WaveLimiterHint : 0
; COMPUTE_PGM_RSRC2:SCRATCH_EN: 0
; COMPUTE_PGM_RSRC2:USER_SGPR: 6
; COMPUTE_PGM_RSRC2:TRAP_HANDLER: 0
; COMPUTE_PGM_RSRC2:TGID_X_EN: 1
; COMPUTE_PGM_RSRC2:TGID_Y_EN: 1
; COMPUTE_PGM_RSRC2:TGID_Z_EN: 0
; COMPUTE_PGM_RSRC2:TIDIG_COMP_CNT: 1
; COMPUTE_PGM_RSRC3_GFX90A:ACCUM_OFFSET: 14
; COMPUTE_PGM_RSRC3_GFX90A:TG_SPLIT: 0
	.section	.text._ZN9rocsparseL29bsrmm_general_blockdim_kernelILj32ELj32EllaaiiEEvb20rocsparse_direction_T2_S2_llNS_24const_host_device_scalarIT6_EEPKT1_PKS2_PKT3_S2_PKT4_llS5_PT5_ll16rocsparse_order_21rocsparse_index_base_b,"axG",@progbits,_ZN9rocsparseL29bsrmm_general_blockdim_kernelILj32ELj32EllaaiiEEvb20rocsparse_direction_T2_S2_llNS_24const_host_device_scalarIT6_EEPKT1_PKS2_PKT3_S2_PKT4_llS5_PT5_ll16rocsparse_order_21rocsparse_index_base_b,comdat
	.globl	_ZN9rocsparseL29bsrmm_general_blockdim_kernelILj32ELj32EllaaiiEEvb20rocsparse_direction_T2_S2_llNS_24const_host_device_scalarIT6_EEPKT1_PKS2_PKT3_S2_PKT4_llS5_PT5_ll16rocsparse_order_21rocsparse_index_base_b ; -- Begin function _ZN9rocsparseL29bsrmm_general_blockdim_kernelILj32ELj32EllaaiiEEvb20rocsparse_direction_T2_S2_llNS_24const_host_device_scalarIT6_EEPKT1_PKS2_PKT3_S2_PKT4_llS5_PT5_ll16rocsparse_order_21rocsparse_index_base_b
	.p2align	8
	.type	_ZN9rocsparseL29bsrmm_general_blockdim_kernelILj32ELj32EllaaiiEEvb20rocsparse_direction_T2_S2_llNS_24const_host_device_scalarIT6_EEPKT1_PKS2_PKT3_S2_PKT4_llS5_PT5_ll16rocsparse_order_21rocsparse_index_base_b,@function
_ZN9rocsparseL29bsrmm_general_blockdim_kernelILj32ELj32EllaaiiEEvb20rocsparse_direction_T2_S2_llNS_24const_host_device_scalarIT6_EEPKT1_PKS2_PKT3_S2_PKT4_llS5_PT5_ll16rocsparse_order_21rocsparse_index_base_b: ; @_ZN9rocsparseL29bsrmm_general_blockdim_kernelILj32ELj32EllaaiiEEvb20rocsparse_direction_T2_S2_llNS_24const_host_device_scalarIT6_EEPKT1_PKS2_PKT3_S2_PKT4_llS5_PT5_ll16rocsparse_order_21rocsparse_index_base_b
; %bb.0:
	s_load_dwordx4 s[20:23], s[4:5], 0x88
	s_load_dwordx2 s[10:11], s[4:5], 0x28
	s_mov_b32 s0, s7
	s_mov_b64 s[12:13], -1
                                        ; implicit-def: $sgpr33
	s_waitcnt lgkmcnt(0)
	s_bitcmp1_b32 s22, 0
	s_cselect_b64 s[2:3], -1, 0
	s_xor_b64 s[8:9], s[2:3], -1
	s_and_b64 vcc, exec, s[8:9]
	s_cbranch_vccnz .LBB17_4
; %bb.1:
	s_load_dwordx2 s[2:3], s[4:5], 0x68
	s_andn2_b64 vcc, exec, s[12:13]
	s_cbranch_vccz .LBB17_5
.LBB17_2:
	s_and_b64 vcc, exec, s[8:9]
	s_cbranch_vccz .LBB17_6
.LBB17_3:
	s_waitcnt lgkmcnt(0)
	s_load_dword s48, s[2:3], 0x0
	s_cbranch_execz .LBB17_7
	s_branch .LBB17_8
.LBB17_4:
	s_load_dword s33, s[10:11], 0x0
	s_load_dwordx2 s[2:3], s[4:5], 0x68
	s_cbranch_execnz .LBB17_2
.LBB17_5:
	s_waitcnt lgkmcnt(0)
	s_mov_b32 s33, s10
	s_and_b64 vcc, exec, s[8:9]
	s_cbranch_vccnz .LBB17_3
.LBB17_6:
                                        ; implicit-def: $sgpr48
.LBB17_7:
	s_waitcnt lgkmcnt(0)
	s_mov_b32 s48, s2
.LBB17_8:
	s_waitcnt lgkmcnt(0)
	s_cmp_eq_u32 s33, 0
	s_cselect_b64 s[2:3], -1, 0
	s_cmp_eq_u32 s48, 1
	s_cselect_b64 s[8:9], -1, 0
	s_and_b64 s[2:3], s[2:3], s[8:9]
	s_and_b64 vcc, exec, s[2:3]
	s_cbranch_vccnz .LBB17_61
; %bb.9:
	s_load_dwordx4 s[24:27], s[4:5], 0x8
	s_load_dwordx2 s[8:9], s[4:5], 0x30
	s_ashr_i32 s7, s6, 31
	s_mov_b64 s[22:23], 0
	s_waitcnt lgkmcnt(0)
	v_pk_mov_b32 v[2:3], s[24:25], s[24:25] op_sel:[0,1]
	v_cmp_ge_i64_e32 vcc, s[6:7], v[2:3]
	v_cmp_lt_i64_e64 s[2:3], s[6:7], v[2:3]
	s_mov_b64 s[24:25], 0
	s_cbranch_vccz .LBB17_12
; %bb.10:
	s_andn2_b64 vcc, exec, s[2:3]
	s_cbranch_vccz .LBB17_13
.LBB17_11:
	s_load_dwordx2 s[28:29], s[4:5], 0x48
	s_waitcnt lgkmcnt(0)
	v_cmp_lt_i64_e64 s[8:9], s[28:29], 1
	s_and_b64 vcc, exec, s[8:9]
	s_cbranch_vccz .LBB17_14
	s_branch .LBB17_61
.LBB17_12:
	s_lshl_b64 s[10:11], s[6:7], 3
	s_add_u32 s10, s8, s10
	s_addc_u32 s11, s9, s11
	s_load_dwordx2 s[10:11], s[10:11], 0x0
	s_waitcnt lgkmcnt(0)
	s_sub_u32 s24, s10, s21
	s_subb_u32 s25, s11, 0
	s_andn2_b64 vcc, exec, s[2:3]
	s_cbranch_vccnz .LBB17_11
.LBB17_13:
	s_lshl_b64 s[10:11], s[6:7], 3
	s_add_u32 s8, s8, s10
	s_addc_u32 s9, s9, s11
	s_load_dwordx2 s[8:9], s[8:9], 0x8
	s_waitcnt lgkmcnt(0)
	s_sub_u32 s22, s8, s21
	s_subb_u32 s23, s9, 0
	s_load_dwordx2 s[28:29], s[4:5], 0x48
	s_waitcnt lgkmcnt(0)
	v_cmp_lt_i64_e64 s[8:9], s[28:29], 1
	s_and_b64 vcc, exec, s[8:9]
	s_cbranch_vccnz .LBB17_61
.LBB17_14:
	s_load_dwordx4 s[8:11], s[4:5], 0x70
	s_load_dwordx4 s[12:15], s[4:5], 0x50
	;; [unrolled: 1-line block ×3, first 2 shown]
	s_load_dwordx2 s[34:35], s[4:5], 0x0
	v_bfe_u32 v2, v0, 10, 10
	v_lshl_add_u32 v6, s0, 5, v2
	v_mov_b32_e32 v7, 0
	v_lshlrev_b64 v[4:5], 2, v[6:7]
	s_waitcnt lgkmcnt(0)
	s_bitcmp1_b32 s34, 0
	s_cselect_b64 s[0:1], -1, 0
	s_xor_b64 s[30:31], s[0:1], -1
	s_mul_i32 s0, s6, s29
	s_mul_hi_u32 s1, s6, s28
	s_add_i32 s49, s1, s0
	s_mul_i32 s0, s28, s29
	s_mul_hi_u32 s1, s28, s28
	s_add_i32 s1, s1, s0
	s_add_i32 s51, s1, s0
	v_cmp_gt_i64_e64 s[0:1], s[26:27], v[6:7]
	s_cmp_lg_u32 s35, 0
	s_mul_i32 s50, s6, s28
	s_cselect_b64 s[6:7], -1, 0
	s_and_b64 s[26:27], s[2:3], s[0:1]
	v_mad_u64_u32 v[8:9], s[2:3], v6, s10, 0
	v_mov_b32_e32 v14, s9
	v_add_co_u32_e32 v24, vcc, s8, v4
	v_mov_b32_e32 v12, v9
	v_addc_co_u32_e32 v25, vcc, v14, v5, vcc
	v_mad_u64_u32 v[12:13], s[2:3], v6, s11, v[12:13]
	v_mov_b32_e32 v15, s13
	v_add_co_u32_e32 v4, vcc, s12, v6
	v_mov_b32_e32 v9, v12
	v_addc_co_u32_e32 v5, vcc, 0, v15, vcc
	v_lshlrev_b64 v[8:9], 2, v[8:9]
	v_and_b32_e32 v0, 0x3ff, v0
	v_mov_b32_e32 v1, v7
	v_add_co_u32_e32 v28, vcc, s8, v8
	v_lshlrev_b32_e32 v3, 5, v2
	v_addc_co_u32_e32 v29, vcc, v14, v9, vcc
	v_mad_u64_u32 v[8:9], s[2:3], v6, s14, v[0:1]
	v_add_lshl_u32 v26, v3, v0, 2
	v_mov_b32_e32 v3, v7
	v_mov_b32_e32 v7, 0x1000
	;; [unrolled: 1-line block ×3, first 2 shown]
	s_cmp_lg_u32 s48, 0
	v_lshl_add_u32 v31, v2, 7, v7
	v_mad_u64_u32 v[6:7], s[2:3], v6, s15, v[12:13]
	s_cselect_b64 s[34:35], -1, 0
	s_cmp_lg_u32 s20, 1
	v_mov_b32_e32 v7, v6
	v_add_co_u32_e32 v6, vcc, s12, v8
	s_mul_i32 s2, s25, s28
	s_mul_i32 s3, s24, s29
	v_mov_b32_e32 v8, s28
	s_mov_b32 s53, s21
	s_cselect_b64 s[20:21], -1, 0
	s_add_i32 s4, s3, s2
	v_mad_u64_u32 v[8:9], s[2:3], s24, v8, v[0:1]
	v_add_u32_e32 v1, s4, v9
	v_addc_co_u32_e32 v7, vcc, v15, v7, vcc
	v_mul_lo_u32 v1, s28, v1
	v_mad_u64_u32 v[12:13], s[2:3], s28, v8, v[2:3]
	v_mul_lo_u32 v3, s29, v8
	v_pk_mov_b32 v[10:11], s[22:23], s[22:23] op_sel:[0,1]
	v_add3_u32 v1, v3, v13, v1
	v_mov_b32_e32 v3, s19
	v_add_co_u32_e32 v8, vcc, s18, v12
	s_mul_i32 s52, s28, s28
	v_add_u32_e32 v27, 0x1000, v26
	v_lshlrev_b32_e32 v30, 2, v0
	v_addc_co_u32_e32 v9, vcc, v3, v1, vcc
	s_lshl_b64 s[8:9], s[28:29], 5
	s_mov_b64 s[12:13], 0
	v_cmp_lt_i64_e64 s[2:3], s[24:25], v[10:11]
	s_branch .LBB17_16
.LBB17_15:                              ;   in Loop: Header=BB17_16 Depth=1
	s_or_b64 exec, exec, s[4:5]
	s_add_u32 s12, s12, 32
	v_mov_b32_e32 v1, s9
	v_add_co_u32_e32 v8, vcc, s8, v8
	s_addc_u32 s13, s13, 0
	v_addc_co_u32_e32 v9, vcc, v9, v1, vcc
	v_pk_mov_b32 v[10:11], s[28:29], s[28:29] op_sel:[0,1]
	v_cmp_lt_i64_e32 vcc, s[12:13], v[10:11]
	s_cbranch_vccz .LBB17_61
.LBB17_16:                              ; =>This Loop Header: Depth=1
                                        ;     Child Loop BB17_19 Depth 2
                                        ;       Child Loop BB17_21 Depth 3
	v_mov_b32_e32 v1, s13
	v_add_co_u32_e32 v10, vcc, s12, v0
	v_addc_co_u32_e32 v11, vcc, 0, v1, vcc
	s_andn2_b64 vcc, exec, s[2:3]
	v_cmp_gt_i64_e64 s[4:5], s[28:29], v[10:11]
	v_mov_b32_e32 v1, 0
	s_cbranch_vccnz .LBB17_49
; %bb.17:                               ;   in Loop: Header=BB17_16 Depth=1
	v_mov_b32_e32 v1, s19
	v_add_co_u32_e32 v12, vcc, s18, v10
	v_addc_co_u32_e32 v13, vcc, v1, v11, vcc
	v_mov_b32_e32 v1, 0
	v_pk_mov_b32 v[14:15], v[8:9], v[8:9] op_sel:[0,1]
	s_mov_b64 s[36:37], s[24:25]
	s_branch .LBB17_19
.LBB17_18:                              ;   in Loop: Header=BB17_19 Depth=2
	s_add_u32 s36, s36, 1
	v_mov_b32_e32 v3, s51
	v_add_co_u32_e32 v14, vcc, s52, v14
	s_addc_u32 s37, s37, 0
	v_addc_co_u32_e32 v15, vcc, v15, v3, vcc
	v_pk_mov_b32 v[16:17], s[22:23], s[22:23] op_sel:[0,1]
	v_cmp_ge_i64_e32 vcc, s[36:37], v[16:17]
	s_cbranch_vccnz .LBB17_49
.LBB17_19:                              ;   Parent Loop BB17_16 Depth=1
                                        ; =>  This Loop Header: Depth=2
                                        ;       Child Loop BB17_21 Depth 3
	s_lshl_b64 s[38:39], s[36:37], 3
	s_add_u32 s38, s16, s38
	s_addc_u32 s39, s17, s39
	s_load_dwordx2 s[38:39], s[38:39], 0x0
	s_mul_i32 s40, s51, s36
	v_mov_b32_e32 v3, s36
	s_waitcnt lgkmcnt(0)
	s_sub_u32 s41, s38, s53
	s_subb_u32 s38, s39, 0
	s_mul_i32 s42, s41, s29
	s_mul_i32 s38, s38, s28
	s_mul_hi_u32 s39, s41, s28
	s_add_i32 s42, s42, s38
	s_mul_i32 s38, s52, s37
	s_add_i32 s55, s42, s39
	s_add_i32 s40, s38, s40
	v_mad_u64_u32 v[16:17], s[38:39], s52, v3, v[12:13]
	v_mov_b32_e32 v3, s28
	v_mad_u64_u32 v[18:19], s[38:39], s41, v3, v[6:7]
	s_mul_i32 s54, s41, s28
	v_add_u32_e32 v17, s40, v17
	v_add_u32_e32 v19, s42, v19
	s_mov_b64 s[38:39], 0
	s_branch .LBB17_21
.LBB17_20:                              ;   in Loop: Header=BB17_21 Depth=3
	s_or_b64 exec, exec, s[42:43]
	s_waitcnt vmcnt(0)
	ds_write_b32 v26, v3
	s_waitcnt lgkmcnt(0)
	s_barrier
	ds_read2_b32 v[46:47], v30 offset1:32
	ds_read2_b32 v[44:45], v30 offset0:64 offset1:96
	ds_read_b128 v[20:23], v31
	ds_read_b128 v[32:35], v31 offset:16
	ds_read_b128 v[36:39], v31 offset:32
	;; [unrolled: 1-line block ×3, first 2 shown]
	ds_read2_b32 v[48:49], v30 offset0:192 offset1:224
	ds_read2_b32 v[50:51], v30 offset0:128 offset1:160
	s_waitcnt lgkmcnt(5)
	v_mul_lo_u32 v3, v22, v44
	v_add_u32_e32 v44, 0x400, v30
	v_mul_lo_u32 v60, v20, v46
	v_mul_lo_u32 v20, v23, v45
	ds_read2_b32 v[22:23], v44 offset0:64 offset1:96
	ds_read2_b32 v[52:53], v44 offset1:32
	s_waitcnt lgkmcnt(3)
	v_mul_lo_u32 v61, v34, v48
	s_waitcnt lgkmcnt(2)
	v_mul_lo_u32 v62, v32, v50
	v_mul_lo_u32 v32, v35, v49
	ds_read2_b32 v[34:35], v44 offset0:192 offset1:224
	ds_read2_b32 v[48:49], v44 offset0:128 offset1:160
	s_waitcnt lgkmcnt(2)
	v_mul_lo_u32 v64, v36, v52
	v_mul_lo_u32 v36, v39, v23
	v_add_u32_e32 v39, 0x800, v30
	v_mul_lo_u32 v63, v38, v22
	s_waitcnt lgkmcnt(1)
	v_mul_lo_u32 v65, v42, v34
	v_mul_lo_u32 v38, v43, v35
	ds_read2_b32 v[54:55], v39 offset1:32
	ds_read2_b32 v[34:35], v39 offset0:64 offset1:96
	ds_read_b128 v[42:45], v31 offset:64
	v_mad_u64_u32 v[46:47], s[40:41], v21, v47, v[20:21]
	ds_read2_b32 v[56:57], v39 offset0:192 offset1:224
	ds_read_b128 v[20:23], v31 offset:80
	ds_read2_b32 v[58:59], v39 offset0:128 offset1:160
	v_mad_u64_u32 v[50:51], s[40:41], v33, v51, v[32:33]
	v_add_u32_e32 v51, 0xc00, v30
	s_waitcnt lgkmcnt(6)
	v_mul_lo_u32 v66, v40, v48
	s_waitcnt lgkmcnt(3)
	v_mul_lo_u32 v67, v44, v34
	v_mul_lo_u32 v40, v45, v35
	ds_read2_b32 v[44:45], v51 offset0:64 offset1:96
	ds_read_b128 v[32:35], v31 offset:96
	v_mul_lo_u32 v42, v42, v54
	s_waitcnt lgkmcnt(3)
	v_mul_lo_u32 v54, v22, v56
	s_waitcnt lgkmcnt(2)
	v_mul_lo_u32 v56, v20, v58
	v_mul_lo_u32 v20, v23, v57
	v_mad_u64_u32 v[22:23], s[40:41], v37, v53, v[36:37]
	v_mad_u64_u32 v[48:49], s[40:41], v41, v49, v[38:39]
	ds_read2_b32 v[52:53], v51 offset1:32
	ds_read_b128 v[36:39], v31 offset:112
	v_add3_u32 v3, v60, v3, v46
	ds_read2_b32 v[46:47], v51 offset0:192 offset1:224
	s_waitcnt lgkmcnt(3)
	v_mul_lo_u32 v23, v34, v44
	v_add3_u32 v34, v62, v61, v50
	ds_read2_b32 v[50:51], v51 offset0:128 offset1:160
	s_waitcnt lgkmcnt(3)
	v_mul_lo_u32 v41, v32, v52
	v_mul_lo_u32 v32, v35, v45
	v_add3_u32 v35, v64, v63, v22
	v_add3_u32 v3, v3, v34, v35
	v_mad_u64_u32 v[34:35], s[40:41], v43, v55, v[40:41]
	s_waitcnt lgkmcnt(1)
	v_mul_lo_u32 v22, v39, v47
	v_add3_u32 v39, v66, v65, v48
	v_add3_u32 v34, v42, v67, v34
	v_mad_u64_u32 v[20:21], s[40:41], v21, v59, v[20:21]
	v_add3_u32 v3, v3, v39, v34
	v_add3_u32 v34, v56, v54, v20
	v_mad_u64_u32 v[20:21], s[40:41], v33, v53, v[32:33]
	v_add3_u32 v20, v41, v23, v20
	v_mul_lo_u32 v38, v38, v46
	s_waitcnt lgkmcnt(0)
	v_mul_lo_u32 v36, v36, v50
	v_add3_u32 v3, v3, v34, v20
	v_mad_u64_u32 v[20:21], s[40:41], v37, v51, v[22:23]
	v_add3_u32 v20, v36, v38, v20
	s_add_u32 s38, s38, 32
	v_add3_u32 v1, v3, v20, v1
	s_addc_u32 s39, s39, 0
	v_pk_mov_b32 v[20:21], s[28:29], s[28:29] op_sel:[0,1]
	v_cmp_ge_i64_e32 vcc, s[38:39], v[20:21]
	s_barrier
	s_cbranch_vccnz .LBB17_18
.LBB17_21:                              ;   Parent Loop BB17_16 Depth=1
                                        ;     Parent Loop BB17_19 Depth=2
                                        ; =>    This Inner Loop Header: Depth=3
	s_and_b64 vcc, exec, s[30:31]
	s_cbranch_vccz .LBB17_27
; %bb.22:                               ;   in Loop: Header=BB17_21 Depth=3
	s_mov_b64 s[42:43], 0
	s_mov_b64 s[40:41], 0
                                        ; implicit-def: $vgpr20_vgpr21
	s_and_saveexec_b64 s[44:45], s[0:1]
	s_cbranch_execz .LBB17_26
; %bb.23:                               ;   in Loop: Header=BB17_21 Depth=3
	v_mov_b32_e32 v3, s39
	v_add_co_u32_e32 v22, vcc, s38, v0
	v_addc_co_u32_e32 v23, vcc, 0, v3, vcc
	v_cmp_gt_i64_e32 vcc, s[28:29], v[22:23]
                                        ; implicit-def: $vgpr20_vgpr21
	s_and_saveexec_b64 s[46:47], vcc
	s_xor_b64 s[46:47], exec, s[46:47]
; %bb.24:                               ;   in Loop: Header=BB17_21 Depth=3
	v_mov_b32_e32 v3, s55
	v_add_co_u32_e32 v20, vcc, s54, v22
	v_addc_co_u32_e32 v3, vcc, v23, v3, vcc
	v_mul_lo_u32 v22, v20, s15
	v_mul_lo_u32 v3, v3, s14
	v_mad_u64_u32 v[20:21], s[56:57], v20, s14, v[4:5]
	s_mov_b64 s[40:41], exec
	v_add3_u32 v21, v3, v21, v22
; %bb.25:                               ;   in Loop: Header=BB17_21 Depth=3
	s_or_b64 exec, exec, s[46:47]
	s_and_b64 s[40:41], s[40:41], exec
.LBB17_26:                              ;   in Loop: Header=BB17_21 Depth=3
	s_or_b64 exec, exec, s[44:45]
	s_mov_b32 s44, 0
	s_and_b64 vcc, exec, s[42:43]
	s_cbranch_vccnz .LBB17_28
	s_branch .LBB17_33
.LBB17_27:                              ;   in Loop: Header=BB17_21 Depth=3
	s_mov_b64 s[40:41], 0
                                        ; implicit-def: $vgpr20_vgpr21
                                        ; implicit-def: $sgpr44
	s_cbranch_execz .LBB17_33
.LBB17_28:                              ;   in Loop: Header=BB17_21 Depth=3
                                        ; implicit-def: $vgpr20_vgpr21
	s_and_saveexec_b64 s[42:43], s[0:1]
	s_cbranch_execz .LBB17_32
; %bb.29:                               ;   in Loop: Header=BB17_21 Depth=3
	v_mov_b32_e32 v3, s39
	v_add_co_u32_e32 v20, vcc, s38, v0
	v_addc_co_u32_e32 v21, vcc, 0, v3, vcc
	v_cmp_gt_i64_e32 vcc, s[28:29], v[20:21]
	s_mov_b64 s[46:47], s[40:41]
                                        ; implicit-def: $vgpr20_vgpr21
	s_and_saveexec_b64 s[44:45], vcc
; %bb.30:                               ;   in Loop: Header=BB17_21 Depth=3
	v_mov_b32_e32 v3, s39
	v_add_co_u32_e32 v20, vcc, s38, v18
	v_addc_co_u32_e32 v21, vcc, v19, v3, vcc
	s_or_b64 s[46:47], s[40:41], exec
; %bb.31:                               ;   in Loop: Header=BB17_21 Depth=3
	s_or_b64 exec, exec, s[44:45]
	s_andn2_b64 s[40:41], s[40:41], exec
	s_and_b64 s[44:45], s[46:47], exec
	s_or_b64 s[40:41], s[40:41], s[44:45]
.LBB17_32:                              ;   in Loop: Header=BB17_21 Depth=3
	s_or_b64 exec, exec, s[42:43]
	s_mov_b32 s44, 0
.LBB17_33:                              ;   in Loop: Header=BB17_21 Depth=3
	v_mov_b32_e32 v3, s44
	s_and_saveexec_b64 s[42:43], s[40:41]
	s_cbranch_execnz .LBB17_41
; %bb.34:                               ;   in Loop: Header=BB17_21 Depth=3
	s_or_b64 exec, exec, s[42:43]
	s_and_b64 vcc, exec, s[6:7]
	ds_write_b32 v27, v3
	s_cbranch_vccz .LBB17_42
.LBB17_35:                              ;   in Loop: Header=BB17_21 Depth=3
	s_mov_b64 s[42:43], 0
	s_mov_b64 s[40:41], 0
                                        ; implicit-def: $vgpr20_vgpr21
	s_and_saveexec_b64 s[44:45], s[4:5]
	s_cbranch_execz .LBB17_39
; %bb.36:                               ;   in Loop: Header=BB17_21 Depth=3
	v_mov_b32_e32 v3, s39
	v_add_co_u32_e32 v22, vcc, s38, v2
	v_addc_co_u32_e32 v23, vcc, 0, v3, vcc
	v_cmp_gt_i64_e32 vcc, s[28:29], v[22:23]
                                        ; implicit-def: $vgpr20_vgpr21
	s_and_saveexec_b64 s[46:47], vcc
	s_xor_b64 s[46:47], exec, s[46:47]
; %bb.37:                               ;   in Loop: Header=BB17_21 Depth=3
	v_mad_u64_u32 v[20:21], s[56:57], v22, s28, v[16:17]
	v_mul_lo_u32 v3, v22, s29
	v_mul_lo_u32 v22, v23, s28
	s_mov_b64 s[40:41], exec
	v_add3_u32 v21, v22, v21, v3
; %bb.38:                               ;   in Loop: Header=BB17_21 Depth=3
	s_or_b64 exec, exec, s[46:47]
	s_and_b64 s[40:41], s[40:41], exec
.LBB17_39:                              ;   in Loop: Header=BB17_21 Depth=3
	s_or_b64 exec, exec, s[44:45]
	s_mov_b32 s44, 0
	s_and_b64 vcc, exec, s[42:43]
	s_cbranch_vccnz .LBB17_43
.LBB17_40:                              ;   in Loop: Header=BB17_21 Depth=3
	v_mov_b32_e32 v3, s44
	s_and_saveexec_b64 s[42:43], s[40:41]
	s_cbranch_execz .LBB17_20
	s_branch .LBB17_48
.LBB17_41:                              ;   in Loop: Header=BB17_21 Depth=3
	global_load_sbyte v3, v[20:21], off
	s_or_b64 exec, exec, s[42:43]
	s_and_b64 vcc, exec, s[6:7]
	s_waitcnt vmcnt(0)
	ds_write_b32 v27, v3
	s_cbranch_vccnz .LBB17_35
.LBB17_42:                              ;   in Loop: Header=BB17_21 Depth=3
	s_mov_b64 s[40:41], 0
                                        ; implicit-def: $vgpr20_vgpr21
                                        ; implicit-def: $sgpr44
	s_cbranch_execz .LBB17_40
.LBB17_43:                              ;   in Loop: Header=BB17_21 Depth=3
                                        ; implicit-def: $vgpr20_vgpr21
	s_and_saveexec_b64 s[42:43], s[4:5]
	s_cbranch_execz .LBB17_47
; %bb.44:                               ;   in Loop: Header=BB17_21 Depth=3
	v_mov_b32_e32 v3, s39
	v_add_co_u32_e32 v20, vcc, s38, v2
	v_addc_co_u32_e32 v21, vcc, 0, v3, vcc
	v_cmp_gt_i64_e32 vcc, s[28:29], v[20:21]
	s_mov_b64 s[46:47], s[40:41]
                                        ; implicit-def: $vgpr20_vgpr21
	s_and_saveexec_b64 s[44:45], vcc
; %bb.45:                               ;   in Loop: Header=BB17_21 Depth=3
	v_mov_b32_e32 v3, s39
	v_add_co_u32_e32 v20, vcc, s38, v14
	v_addc_co_u32_e32 v21, vcc, v15, v3, vcc
	s_or_b64 s[46:47], s[40:41], exec
; %bb.46:                               ;   in Loop: Header=BB17_21 Depth=3
	s_or_b64 exec, exec, s[44:45]
	s_andn2_b64 s[40:41], s[40:41], exec
	s_and_b64 s[44:45], s[46:47], exec
	s_or_b64 s[40:41], s[40:41], s[44:45]
.LBB17_47:                              ;   in Loop: Header=BB17_21 Depth=3
	s_or_b64 exec, exec, s[42:43]
	s_mov_b32 s44, 0
	v_mov_b32_e32 v3, s44
	s_and_saveexec_b64 s[42:43], s[40:41]
	s_cbranch_execz .LBB17_20
.LBB17_48:                              ;   in Loop: Header=BB17_21 Depth=3
	global_load_sbyte v3, v[20:21], off
	s_branch .LBB17_20
.LBB17_49:                              ;   in Loop: Header=BB17_16 Depth=1
	v_cmp_gt_i64_e32 vcc, s[28:29], v[10:11]
	s_and_b64 s[36:37], s[26:27], vcc
	s_and_saveexec_b64 s[4:5], s[36:37]
	s_cbranch_execz .LBB17_15
; %bb.50:                               ;   in Loop: Header=BB17_16 Depth=1
	v_mov_b32_e32 v3, s49
	v_add_co_u32_e32 v10, vcc, s50, v10
	v_addc_co_u32_e32 v11, vcc, v11, v3, vcc
	s_mov_b64 s[36:37], -1
	s_and_b64 vcc, exec, s[34:35]
	s_cbranch_vccz .LBB17_56
; %bb.51:                               ;   in Loop: Header=BB17_16 Depth=1
	s_and_b64 vcc, exec, s[20:21]
	s_cbranch_vccz .LBB17_53
; %bb.52:                               ;   in Loop: Header=BB17_16 Depth=1
	v_mul_lo_u32 v3, v11, s10
	v_mul_lo_u32 v14, v10, s11
	v_mad_u64_u32 v[12:13], s[36:37], v10, s10, 0
	v_add3_u32 v13, v13, v14, v3
	v_lshlrev_b64 v[12:13], 2, v[12:13]
	v_add_co_u32_e32 v12, vcc, v24, v12
	v_addc_co_u32_e32 v13, vcc, v25, v13, vcc
	global_load_dword v3, v[12:13], off
	v_mul_lo_u32 v14, v1, s33
	s_waitcnt vmcnt(0)
	v_mad_u64_u32 v[14:15], s[36:37], v3, s48, v[14:15]
	global_store_dword v[12:13], v14, off
	s_mov_b64 s[36:37], 0
.LBB17_53:                              ;   in Loop: Header=BB17_16 Depth=1
	s_andn2_b64 vcc, exec, s[36:37]
	s_cbranch_vccnz .LBB17_55
; %bb.54:                               ;   in Loop: Header=BB17_16 Depth=1
	v_lshlrev_b64 v[12:13], 2, v[10:11]
	v_add_co_u32_e32 v12, vcc, v28, v12
	v_addc_co_u32_e32 v13, vcc, v29, v13, vcc
	global_load_dword v3, v[12:13], off
	v_mul_lo_u32 v14, v1, s33
	s_waitcnt vmcnt(0)
	v_mad_u64_u32 v[14:15], s[36:37], v3, s48, v[14:15]
	global_store_dword v[12:13], v14, off
.LBB17_55:                              ;   in Loop: Header=BB17_16 Depth=1
	s_mov_b64 s[36:37], 0
.LBB17_56:                              ;   in Loop: Header=BB17_16 Depth=1
	s_andn2_b64 vcc, exec, s[36:37]
	s_cbranch_vccnz .LBB17_15
; %bb.57:                               ;   in Loop: Header=BB17_16 Depth=1
	v_mul_lo_u32 v1, v1, s33
	s_mov_b64 s[36:37], -1
	s_and_b64 vcc, exec, s[20:21]
	s_cbranch_vccz .LBB17_59
; %bb.58:                               ;   in Loop: Header=BB17_16 Depth=1
	v_mul_lo_u32 v3, v11, s10
	v_mul_lo_u32 v14, v10, s11
	v_mad_u64_u32 v[12:13], s[36:37], v10, s10, 0
	v_add3_u32 v13, v13, v14, v3
	v_lshlrev_b64 v[12:13], 2, v[12:13]
	v_add_co_u32_e32 v12, vcc, v24, v12
	v_addc_co_u32_e32 v13, vcc, v25, v13, vcc
	global_store_dword v[12:13], v1, off
	s_mov_b64 s[36:37], 0
.LBB17_59:                              ;   in Loop: Header=BB17_16 Depth=1
	s_andn2_b64 vcc, exec, s[36:37]
	s_cbranch_vccnz .LBB17_15
; %bb.60:                               ;   in Loop: Header=BB17_16 Depth=1
	v_lshlrev_b64 v[10:11], 2, v[10:11]
	v_add_co_u32_e32 v10, vcc, v28, v10
	v_addc_co_u32_e32 v11, vcc, v29, v11, vcc
	global_store_dword v[10:11], v1, off
	s_branch .LBB17_15
.LBB17_61:
	s_endpgm
	.section	.rodata,"a",@progbits
	.p2align	6, 0x0
	.amdhsa_kernel _ZN9rocsparseL29bsrmm_general_blockdim_kernelILj32ELj32EllaaiiEEvb20rocsparse_direction_T2_S2_llNS_24const_host_device_scalarIT6_EEPKT1_PKS2_PKT3_S2_PKT4_llS5_PT5_ll16rocsparse_order_21rocsparse_index_base_b
		.amdhsa_group_segment_fixed_size 8192
		.amdhsa_private_segment_fixed_size 0
		.amdhsa_kernarg_size 148
		.amdhsa_user_sgpr_count 6
		.amdhsa_user_sgpr_private_segment_buffer 1
		.amdhsa_user_sgpr_dispatch_ptr 0
		.amdhsa_user_sgpr_queue_ptr 0
		.amdhsa_user_sgpr_kernarg_segment_ptr 1
		.amdhsa_user_sgpr_dispatch_id 0
		.amdhsa_user_sgpr_flat_scratch_init 0
		.amdhsa_user_sgpr_kernarg_preload_length 0
		.amdhsa_user_sgpr_kernarg_preload_offset 0
		.amdhsa_user_sgpr_private_segment_size 0
		.amdhsa_uses_dynamic_stack 0
		.amdhsa_system_sgpr_private_segment_wavefront_offset 0
		.amdhsa_system_sgpr_workgroup_id_x 1
		.amdhsa_system_sgpr_workgroup_id_y 1
		.amdhsa_system_sgpr_workgroup_id_z 0
		.amdhsa_system_sgpr_workgroup_info 0
		.amdhsa_system_vgpr_workitem_id 1
		.amdhsa_next_free_vgpr 68
		.amdhsa_next_free_sgpr 58
		.amdhsa_accum_offset 68
		.amdhsa_reserve_vcc 1
		.amdhsa_reserve_flat_scratch 0
		.amdhsa_float_round_mode_32 0
		.amdhsa_float_round_mode_16_64 0
		.amdhsa_float_denorm_mode_32 3
		.amdhsa_float_denorm_mode_16_64 3
		.amdhsa_dx10_clamp 1
		.amdhsa_ieee_mode 1
		.amdhsa_fp16_overflow 0
		.amdhsa_tg_split 0
		.amdhsa_exception_fp_ieee_invalid_op 0
		.amdhsa_exception_fp_denorm_src 0
		.amdhsa_exception_fp_ieee_div_zero 0
		.amdhsa_exception_fp_ieee_overflow 0
		.amdhsa_exception_fp_ieee_underflow 0
		.amdhsa_exception_fp_ieee_inexact 0
		.amdhsa_exception_int_div_zero 0
	.end_amdhsa_kernel
	.section	.text._ZN9rocsparseL29bsrmm_general_blockdim_kernelILj32ELj32EllaaiiEEvb20rocsparse_direction_T2_S2_llNS_24const_host_device_scalarIT6_EEPKT1_PKS2_PKT3_S2_PKT4_llS5_PT5_ll16rocsparse_order_21rocsparse_index_base_b,"axG",@progbits,_ZN9rocsparseL29bsrmm_general_blockdim_kernelILj32ELj32EllaaiiEEvb20rocsparse_direction_T2_S2_llNS_24const_host_device_scalarIT6_EEPKT1_PKS2_PKT3_S2_PKT4_llS5_PT5_ll16rocsparse_order_21rocsparse_index_base_b,comdat
.Lfunc_end17:
	.size	_ZN9rocsparseL29bsrmm_general_blockdim_kernelILj32ELj32EllaaiiEEvb20rocsparse_direction_T2_S2_llNS_24const_host_device_scalarIT6_EEPKT1_PKS2_PKT3_S2_PKT4_llS5_PT5_ll16rocsparse_order_21rocsparse_index_base_b, .Lfunc_end17-_ZN9rocsparseL29bsrmm_general_blockdim_kernelILj32ELj32EllaaiiEEvb20rocsparse_direction_T2_S2_llNS_24const_host_device_scalarIT6_EEPKT1_PKS2_PKT3_S2_PKT4_llS5_PT5_ll16rocsparse_order_21rocsparse_index_base_b
                                        ; -- End function
	.section	.AMDGPU.csdata,"",@progbits
; Kernel info:
; codeLenInByte = 2504
; NumSgprs: 62
; NumVgprs: 68
; NumAgprs: 0
; TotalNumVgprs: 68
; ScratchSize: 0
; MemoryBound: 0
; FloatMode: 240
; IeeeMode: 1
; LDSByteSize: 8192 bytes/workgroup (compile time only)
; SGPRBlocks: 7
; VGPRBlocks: 8
; NumSGPRsForWavesPerEU: 62
; NumVGPRsForWavesPerEU: 68
; AccumOffset: 68
; Occupancy: 7
; WaveLimiterHint : 1
; COMPUTE_PGM_RSRC2:SCRATCH_EN: 0
; COMPUTE_PGM_RSRC2:USER_SGPR: 6
; COMPUTE_PGM_RSRC2:TRAP_HANDLER: 0
; COMPUTE_PGM_RSRC2:TGID_X_EN: 1
; COMPUTE_PGM_RSRC2:TGID_Y_EN: 1
; COMPUTE_PGM_RSRC2:TGID_Z_EN: 0
; COMPUTE_PGM_RSRC2:TIDIG_COMP_CNT: 1
; COMPUTE_PGM_RSRC3_GFX90A:ACCUM_OFFSET: 16
; COMPUTE_PGM_RSRC3_GFX90A:TG_SPLIT: 0
	.section	.text._ZN9rocsparseL29bsrmm_general_blockdim_kernelILj32ELj32EiiaaffEEvb20rocsparse_direction_T2_S2_llNS_24const_host_device_scalarIT6_EEPKT1_PKS2_PKT3_S2_PKT4_llS5_PT5_ll16rocsparse_order_21rocsparse_index_base_b,"axG",@progbits,_ZN9rocsparseL29bsrmm_general_blockdim_kernelILj32ELj32EiiaaffEEvb20rocsparse_direction_T2_S2_llNS_24const_host_device_scalarIT6_EEPKT1_PKS2_PKT3_S2_PKT4_llS5_PT5_ll16rocsparse_order_21rocsparse_index_base_b,comdat
	.globl	_ZN9rocsparseL29bsrmm_general_blockdim_kernelILj32ELj32EiiaaffEEvb20rocsparse_direction_T2_S2_llNS_24const_host_device_scalarIT6_EEPKT1_PKS2_PKT3_S2_PKT4_llS5_PT5_ll16rocsparse_order_21rocsparse_index_base_b ; -- Begin function _ZN9rocsparseL29bsrmm_general_blockdim_kernelILj32ELj32EiiaaffEEvb20rocsparse_direction_T2_S2_llNS_24const_host_device_scalarIT6_EEPKT1_PKS2_PKT3_S2_PKT4_llS5_PT5_ll16rocsparse_order_21rocsparse_index_base_b
	.p2align	8
	.type	_ZN9rocsparseL29bsrmm_general_blockdim_kernelILj32ELj32EiiaaffEEvb20rocsparse_direction_T2_S2_llNS_24const_host_device_scalarIT6_EEPKT1_PKS2_PKT3_S2_PKT4_llS5_PT5_ll16rocsparse_order_21rocsparse_index_base_b,@function
_ZN9rocsparseL29bsrmm_general_blockdim_kernelILj32ELj32EiiaaffEEvb20rocsparse_direction_T2_S2_llNS_24const_host_device_scalarIT6_EEPKT1_PKS2_PKT3_S2_PKT4_llS5_PT5_ll16rocsparse_order_21rocsparse_index_base_b: ; @_ZN9rocsparseL29bsrmm_general_blockdim_kernelILj32ELj32EiiaaffEEvb20rocsparse_direction_T2_S2_llNS_24const_host_device_scalarIT6_EEPKT1_PKS2_PKT3_S2_PKT4_llS5_PT5_ll16rocsparse_order_21rocsparse_index_base_b
; %bb.0:
	s_load_dwordx4 s[8:11], s[4:5], 0x80
	s_mov_b32 s0, s7
	s_waitcnt lgkmcnt(0)
	s_bitcmp1_b32 s10, 0
	s_load_dwordx2 s[10:11], s[4:5], 0x20
	s_load_dwordx2 s[28:29], s[4:5], 0x60
	s_cselect_b64 s[12:13], -1, 0
	s_xor_b64 s[2:3], s[12:13], -1
	s_and_b64 vcc, exec, s[12:13]
	s_cbranch_vccnz .LBB18_2
; %bb.1:
	s_waitcnt lgkmcnt(0)
	s_load_dword s10, s[10:11], 0x0
.LBB18_2:
	s_andn2_b64 vcc, exec, s[2:3]
	s_cbranch_vccnz .LBB18_4
; %bb.3:
	s_waitcnt lgkmcnt(0)
	s_load_dword s28, s[28:29], 0x0
.LBB18_4:
	s_waitcnt lgkmcnt(0)
	v_cmp_eq_f32_e64 s[2:3], s10, 0
	v_cmp_eq_f32_e64 s[12:13], s28, 1.0
	s_and_b64 s[2:3], s[2:3], s[12:13]
	s_mov_b32 s11, 0
	s_and_b64 vcc, exec, s[2:3]
	s_cbranch_vccnz .LBB18_57
; %bb.5:
	s_load_dwordx4 s[24:27], s[4:5], 0x0
	s_load_dwordx2 s[12:13], s[4:5], 0x28
	s_waitcnt lgkmcnt(0)
	s_cmp_lt_i32 s6, s26
	s_cselect_b64 s[2:3], -1, 0
	s_cmp_ge_i32 s6, s26
	s_cbranch_scc0 .LBB18_8
; %bb.6:
	s_andn2_b64 vcc, exec, s[2:3]
	s_mov_b32 s29, 0
	s_cbranch_vccz .LBB18_9
.LBB18_7:
	s_load_dword s33, s[4:5], 0x40
	s_waitcnt lgkmcnt(0)
	s_cmp_lt_i32 s33, 1
	s_cbranch_scc0 .LBB18_10
	s_branch .LBB18_57
.LBB18_8:
	s_ashr_i32 s7, s6, 31
	s_lshl_b64 s[14:15], s[6:7], 2
	s_add_u32 s14, s12, s14
	s_addc_u32 s15, s13, s15
	s_load_dword s1, s[14:15], 0x0
	s_waitcnt lgkmcnt(0)
	s_sub_i32 s11, s1, s9
	s_andn2_b64 vcc, exec, s[2:3]
	s_mov_b32 s29, 0
	s_cbranch_vccnz .LBB18_7
.LBB18_9:
	s_ashr_i32 s7, s6, 31
	s_lshl_b64 s[14:15], s[6:7], 2
	s_add_u32 s12, s12, s14
	s_addc_u32 s13, s13, s15
	s_load_dword s1, s[12:13], 0x4
	s_waitcnt lgkmcnt(0)
	s_sub_i32 s29, s1, s9
	s_load_dword s33, s[4:5], 0x40
	s_waitcnt lgkmcnt(0)
	s_cmp_lt_i32 s33, 1
	s_cbranch_scc1 .LBB18_57
.LBB18_10:
	s_load_dwordx4 s[12:15], s[4:5], 0x68
	s_load_dwordx4 s[16:19], s[4:5], 0x30
	;; [unrolled: 1-line block ×3, first 2 shown]
	v_and_b32_e32 v1, 0x3ff, v0
	v_bfe_u32 v0, v0, 10, 10
	s_bitcmp1_b32 s24, 0
	v_lshl_add_u32 v6, s0, 5, v0
	v_lshlrev_b32_e32 v4, 5, v0
	s_cselect_b64 s[4:5], -1, 0
	v_ashrrev_i32_e32 v7, 31, v6
	v_add_lshl_u32 v12, v4, v1, 2
	s_waitcnt lgkmcnt(0)
	v_pk_mov_b32 v[4:5], s[20:21], s[20:21] op_sel:[0,1]
	s_xor_b64 s[30:31], s[4:5], -1
	s_mul_i32 s42, s6, s33
	v_mov_b32_e32 v3, s21
	v_add_co_u32_e32 v2, vcc, s20, v6
	v_mul_lo_u32 v8, v7, s22
	v_mul_lo_u32 v9, v6, s23
	v_mad_u64_u32 v[4:5], s[6:7], v6, s22, v[4:5]
	s_cmp_lt_i32 s11, s29
	v_addc_co_u32_e32 v3, vcc, v3, v7, vcc
	v_add3_u32 v5, v8, v5, v9
	v_lshlrev_b64 v[8:9], 2, v[6:7]
	s_cselect_b64 s[4:5], -1, 0
	v_cmp_gt_i32_e64 s[0:1], s27, v6
	s_cmp_lg_u32 s25, 0
	v_mov_b32_e32 v10, s13
	v_add_co_u32_e32 v14, vcc, s12, v8
	s_cselect_b64 s[6:7], -1, 0
	s_and_b64 s[20:21], s[2:3], s[0:1]
	v_addc_co_u32_e32 v15, vcc, v10, v9, vcc
	v_mul_lo_u32 v8, v7, s14
	v_mul_lo_u32 v9, v6, s15
	v_mad_u64_u32 v[6:7], s[2:3], v6, s14, 0
	v_add3_u32 v7, v7, v9, v8
	v_lshlrev_b64 v[6:7], 2, v[6:7]
	v_add_co_u32_e32 v16, vcc, s12, v6
	v_mov_b32_e32 v6, 0x1000
	s_mul_i32 s2, s11, s33
	v_lshl_add_u32 v19, v0, 7, v6
	v_add_u32_e32 v6, s2, v1
	v_addc_co_u32_e32 v17, vcc, v10, v7, vcc
	v_mad_u64_u32 v[6:7], s[2:3], s33, v6, v[0:1]
	s_cmp_lg_u32 s8, 1
	v_cndmask_b32_e64 v7, 0, 1, s[4:5]
	v_add_u32_e32 v13, 0x1000, v12
	s_mov_b32 s43, 0
	v_cmp_neq_f32_e64 s[24:25], s28, 0
	s_cselect_b64 s[26:27], -1, 0
	v_lshlrev_b32_e32 v18, 2, v1
	s_lshl_b32 s8, s33, 5
	s_mul_i32 s44, s33, s33
	v_cmp_ne_u32_e64 s[2:3], 1, v7
	s_branch .LBB18_12
.LBB18_11:                              ;   in Loop: Header=BB18_12 Depth=1
	s_or_b64 exec, exec, s[4:5]
	s_add_i32 s43, s43, 32
	s_cmp_lt_i32 s43, s33
	v_add_u32_e32 v6, s8, v6
	s_cbranch_scc0 .LBB18_57
.LBB18_12:                              ; =>This Loop Header: Depth=1
                                        ;     Child Loop BB18_15 Depth 2
                                        ;       Child Loop BB18_17 Depth 3
	v_add_u32_e32 v8, s43, v1
	s_and_b64 vcc, exec, s[2:3]
	v_mov_b32_e32 v7, 0
	v_cmp_gt_i32_e64 s[4:5], s33, v8
	s_cbranch_vccnz .LBB18_45
; %bb.13:                               ;   in Loop: Header=BB18_12 Depth=1
	v_mov_b32_e32 v7, 0
	v_mov_b32_e32 v9, v6
	s_mov_b32 s12, s11
	s_branch .LBB18_15
.LBB18_14:                              ;   in Loop: Header=BB18_15 Depth=2
	s_add_i32 s12, s12, 1
	s_cmp_ge_i32 s12, s29
	v_add_u32_e32 v9, s44, v9
	s_cbranch_scc1 .LBB18_45
.LBB18_15:                              ;   Parent Loop BB18_12 Depth=1
                                        ; =>  This Loop Header: Depth=2
                                        ;       Child Loop BB18_17 Depth 3
	s_ashr_i32 s13, s12, 31
	s_lshl_b64 s[34:35], s[12:13], 2
	s_add_u32 s34, s16, s34
	s_addc_u32 s35, s17, s35
	s_load_dword s34, s[34:35], 0x0
	s_mul_i32 s13, s12, s33
	s_mov_b32 s45, 0
	s_waitcnt lgkmcnt(0)
	s_sub_i32 s34, s34, s9
	s_mul_i32 s34, s34, s33
	v_add_u32_e32 v20, s34, v1
	s_branch .LBB18_17
.LBB18_16:                              ;   in Loop: Header=BB18_17 Depth=3
	s_or_b64 exec, exec, s[36:37]
	ds_write_b32 v12, v11
	s_waitcnt lgkmcnt(0)
	s_barrier
	ds_read2_b32 v[10:11], v18 offset1:32
	ds_read_b128 v[22:25], v19
	ds_read_b128 v[26:29], v19 offset:16
	ds_read2_b32 v[38:39], v18 offset0:64 offset1:96
	ds_read_b128 v[30:33], v19 offset:32
	ds_read_b128 v[34:37], v19 offset:48
	ds_read2_b32 v[40:41], v18 offset0:128 offset1:160
	s_waitcnt lgkmcnt(5)
	v_fmac_f32_e32 v7, v10, v22
	v_fmac_f32_e32 v7, v11, v23
	ds_read2_b32 v[10:11], v18 offset0:192 offset1:224
	s_waitcnt lgkmcnt(4)
	v_fmac_f32_e32 v7, v38, v24
	v_fmac_f32_e32 v7, v39, v25
	s_waitcnt lgkmcnt(1)
	v_fmac_f32_e32 v7, v40, v26
	v_add_u32_e32 v21, 0x400, v18
	ds_read2_b32 v[22:23], v21 offset1:32
	v_fmac_f32_e32 v7, v41, v27
	s_waitcnt lgkmcnt(1)
	v_fmac_f32_e32 v7, v10, v28
	v_fmac_f32_e32 v7, v11, v29
	ds_read2_b32 v[10:11], v21 offset0:64 offset1:96
	ds_read2_b32 v[24:25], v21 offset0:128 offset1:160
	s_waitcnt lgkmcnt(2)
	v_fmac_f32_e32 v7, v22, v30
	v_fmac_f32_e32 v7, v23, v31
	ds_read2_b32 v[26:27], v21 offset0:192 offset1:224
	s_waitcnt lgkmcnt(2)
	v_fmac_f32_e32 v7, v10, v32
	v_fmac_f32_e32 v7, v11, v33
	s_waitcnt lgkmcnt(1)
	v_fmac_f32_e32 v7, v24, v34
	v_add_u32_e32 v21, 0x800, v18
	v_fmac_f32_e32 v7, v25, v35
	ds_read2_b32 v[10:11], v21 offset1:32
	ds_read_b128 v[22:25], v19 offset:64
	s_waitcnt lgkmcnt(2)
	v_fmac_f32_e32 v7, v26, v36
	v_fmac_f32_e32 v7, v27, v37
	ds_read2_b32 v[30:31], v21 offset0:64 offset1:96
	ds_read2_b32 v[32:33], v21 offset0:128 offset1:160
	ds_read_b128 v[26:29], v19 offset:80
	s_add_i32 s45, s45, 32
	s_waitcnt lgkmcnt(3)
	v_fmac_f32_e32 v7, v10, v22
	v_fmac_f32_e32 v7, v11, v23
	ds_read2_b32 v[10:11], v21 offset0:192 offset1:224
	s_waitcnt lgkmcnt(3)
	v_fmac_f32_e32 v7, v30, v24
	v_fmac_f32_e32 v7, v31, v25
	v_add_u32_e32 v21, 0xc00, v18
	s_waitcnt lgkmcnt(1)
	v_fmac_f32_e32 v7, v32, v26
	ds_read2_b32 v[30:31], v21 offset1:32
	ds_read_b128 v[22:25], v19 offset:96
	v_fmac_f32_e32 v7, v33, v27
	s_waitcnt lgkmcnt(2)
	v_fmac_f32_e32 v7, v10, v28
	v_fmac_f32_e32 v7, v11, v29
	ds_read2_b32 v[10:11], v21 offset0:64 offset1:96
	ds_read_b128 v[26:29], v19 offset:112
	ds_read2_b32 v[32:33], v21 offset0:128 offset1:160
	s_waitcnt lgkmcnt(3)
	v_fmac_f32_e32 v7, v30, v22
	v_fmac_f32_e32 v7, v31, v23
	ds_read2_b32 v[22:23], v21 offset0:192 offset1:224
	s_waitcnt lgkmcnt(3)
	v_fmac_f32_e32 v7, v10, v24
	v_fmac_f32_e32 v7, v11, v25
	s_waitcnt lgkmcnt(1)
	v_fmac_f32_e32 v7, v32, v26
	v_fmac_f32_e32 v7, v33, v27
	;; [unrolled: 3-line block ×3, first 2 shown]
	s_cmp_ge_i32 s45, s33
	s_barrier
	s_cbranch_scc1 .LBB18_14
.LBB18_17:                              ;   Parent Loop BB18_12 Depth=1
                                        ;     Parent Loop BB18_15 Depth=2
                                        ; =>    This Inner Loop Header: Depth=3
	s_and_b64 vcc, exec, s[30:31]
	s_cbranch_vccz .LBB18_23
; %bb.18:                               ;   in Loop: Header=BB18_17 Depth=3
	s_mov_b64 s[36:37], 0
	s_mov_b64 s[34:35], 0
                                        ; implicit-def: $vgpr10_vgpr11
	s_and_saveexec_b64 s[38:39], s[0:1]
	s_cbranch_execz .LBB18_22
; %bb.19:                               ;   in Loop: Header=BB18_17 Depth=3
	v_add_u32_e32 v10, s45, v1
	v_cmp_gt_i32_e32 vcc, s33, v10
                                        ; implicit-def: $vgpr10_vgpr11
	s_and_saveexec_b64 s[40:41], vcc
	s_xor_b64 s[40:41], exec, s[40:41]
; %bb.20:                               ;   in Loop: Header=BB18_17 Depth=3
	v_add_u32_e32 v10, s45, v20
	v_ashrrev_i32_e32 v11, 31, v10
	v_mul_lo_u32 v21, v11, s22
	v_mul_lo_u32 v22, v10, s23
	v_mad_u64_u32 v[10:11], s[46:47], v10, s22, v[2:3]
	s_mov_b64 s[34:35], exec
	v_add3_u32 v11, v21, v11, v22
; %bb.21:                               ;   in Loop: Header=BB18_17 Depth=3
	s_or_b64 exec, exec, s[40:41]
	s_and_b64 s[34:35], s[34:35], exec
.LBB18_22:                              ;   in Loop: Header=BB18_17 Depth=3
	s_or_b64 exec, exec, s[38:39]
	s_mov_b32 s38, 0
	s_and_b64 vcc, exec, s[36:37]
	s_cbranch_vccnz .LBB18_24
	s_branch .LBB18_29
.LBB18_23:                              ;   in Loop: Header=BB18_17 Depth=3
	s_mov_b64 s[34:35], 0
                                        ; implicit-def: $vgpr10_vgpr11
                                        ; implicit-def: $sgpr38
	s_cbranch_execz .LBB18_29
.LBB18_24:                              ;   in Loop: Header=BB18_17 Depth=3
                                        ; implicit-def: $vgpr10_vgpr11
	s_and_saveexec_b64 s[36:37], s[0:1]
	s_cbranch_execz .LBB18_28
; %bb.25:                               ;   in Loop: Header=BB18_17 Depth=3
	v_add_u32_e32 v10, s45, v1
	v_cmp_gt_i32_e32 vcc, s33, v10
	s_mov_b64 s[40:41], s[34:35]
                                        ; implicit-def: $vgpr10_vgpr11
	s_and_saveexec_b64 s[38:39], vcc
; %bb.26:                               ;   in Loop: Header=BB18_17 Depth=3
	v_add_u32_e32 v10, s45, v20
	v_ashrrev_i32_e32 v11, 31, v10
	v_add_co_u32_e32 v10, vcc, v4, v10
	v_addc_co_u32_e32 v11, vcc, v5, v11, vcc
	s_or_b64 s[40:41], s[34:35], exec
; %bb.27:                               ;   in Loop: Header=BB18_17 Depth=3
	s_or_b64 exec, exec, s[38:39]
	s_andn2_b64 s[34:35], s[34:35], exec
	s_and_b64 s[38:39], s[40:41], exec
	s_or_b64 s[34:35], s[34:35], s[38:39]
.LBB18_28:                              ;   in Loop: Header=BB18_17 Depth=3
	s_or_b64 exec, exec, s[36:37]
	s_mov_b32 s38, 0
.LBB18_29:                              ;   in Loop: Header=BB18_17 Depth=3
	v_mov_b32_e32 v21, s38
	s_and_saveexec_b64 s[36:37], s[34:35]
	s_cbranch_execnz .LBB18_37
; %bb.30:                               ;   in Loop: Header=BB18_17 Depth=3
	s_or_b64 exec, exec, s[36:37]
	s_and_b64 vcc, exec, s[6:7]
	ds_write_b32 v13, v21
	s_cbranch_vccz .LBB18_38
.LBB18_31:                              ;   in Loop: Header=BB18_17 Depth=3
	s_mov_b64 s[36:37], 0
	s_mov_b64 s[34:35], 0
                                        ; implicit-def: $vgpr10
	s_and_saveexec_b64 s[38:39], s[4:5]
	s_cbranch_execz .LBB18_35
; %bb.32:                               ;   in Loop: Header=BB18_17 Depth=3
	v_add_u32_e32 v11, s45, v0
	v_cmp_gt_i32_e32 vcc, s33, v11
                                        ; implicit-def: $vgpr10
	s_and_saveexec_b64 s[40:41], vcc
	s_xor_b64 s[40:41], exec, s[40:41]
; %bb.33:                               ;   in Loop: Header=BB18_17 Depth=3
	v_add_u32_e32 v10, s13, v11
	s_mov_b64 s[34:35], exec
	v_mad_u64_u32 v[10:11], s[46:47], v10, s33, v[8:9]
; %bb.34:                               ;   in Loop: Header=BB18_17 Depth=3
	s_or_b64 exec, exec, s[40:41]
	s_and_b64 s[34:35], s[34:35], exec
.LBB18_35:                              ;   in Loop: Header=BB18_17 Depth=3
	s_or_b64 exec, exec, s[38:39]
	s_mov_b32 s38, 0
	s_and_b64 vcc, exec, s[36:37]
	s_cbranch_vccnz .LBB18_39
.LBB18_36:                              ;   in Loop: Header=BB18_17 Depth=3
	v_mov_b32_e32 v11, s38
	s_and_saveexec_b64 s[36:37], s[34:35]
	s_cbranch_execz .LBB18_16
	s_branch .LBB18_44
.LBB18_37:                              ;   in Loop: Header=BB18_17 Depth=3
	global_load_sbyte v10, v[10:11], off
	s_waitcnt vmcnt(0)
	v_cvt_f32_i32_e32 v21, v10
	s_or_b64 exec, exec, s[36:37]
	s_and_b64 vcc, exec, s[6:7]
	ds_write_b32 v13, v21
	s_cbranch_vccnz .LBB18_31
.LBB18_38:                              ;   in Loop: Header=BB18_17 Depth=3
	s_mov_b64 s[34:35], 0
                                        ; implicit-def: $vgpr10
                                        ; implicit-def: $sgpr38
	s_cbranch_execz .LBB18_36
.LBB18_39:                              ;   in Loop: Header=BB18_17 Depth=3
                                        ; implicit-def: $vgpr10
	s_and_saveexec_b64 s[36:37], s[4:5]
	s_cbranch_execz .LBB18_43
; %bb.40:                               ;   in Loop: Header=BB18_17 Depth=3
	v_add_u32_e32 v10, s45, v0
	v_cmp_gt_i32_e32 vcc, s33, v10
	s_mov_b64 s[38:39], s[34:35]
                                        ; implicit-def: $vgpr10
	s_and_saveexec_b64 s[40:41], vcc
; %bb.41:                               ;   in Loop: Header=BB18_17 Depth=3
	v_add_u32_e32 v10, s45, v9
	s_or_b64 s[38:39], s[34:35], exec
; %bb.42:                               ;   in Loop: Header=BB18_17 Depth=3
	s_or_b64 exec, exec, s[40:41]
	s_andn2_b64 s[34:35], s[34:35], exec
	s_and_b64 s[38:39], s[38:39], exec
	s_or_b64 s[34:35], s[34:35], s[38:39]
.LBB18_43:                              ;   in Loop: Header=BB18_17 Depth=3
	s_or_b64 exec, exec, s[36:37]
	s_mov_b32 s38, 0
	v_mov_b32_e32 v11, s38
	s_and_saveexec_b64 s[36:37], s[34:35]
	s_cbranch_execz .LBB18_16
.LBB18_44:                              ;   in Loop: Header=BB18_17 Depth=3
	v_ashrrev_i32_e32 v11, 31, v10
	v_mov_b32_e32 v21, s19
	v_add_co_u32_e32 v10, vcc, s18, v10
	v_addc_co_u32_e32 v11, vcc, v21, v11, vcc
	global_load_sbyte v10, v[10:11], off
	s_waitcnt vmcnt(0)
	v_cvt_f32_i32_e32 v11, v10
	s_branch .LBB18_16
.LBB18_45:                              ;   in Loop: Header=BB18_12 Depth=1
	v_cmp_gt_i32_e32 vcc, s33, v8
	s_and_b64 s[12:13], s[20:21], vcc
	s_and_saveexec_b64 s[4:5], s[12:13]
	s_cbranch_execz .LBB18_11
; %bb.46:                               ;   in Loop: Header=BB18_12 Depth=1
	v_add_u32_e32 v8, s42, v8
	s_and_b64 vcc, exec, s[24:25]
	v_ashrrev_i32_e32 v9, 31, v8
	s_mov_b64 s[12:13], -1
	s_cbranch_vccz .LBB18_52
; %bb.47:                               ;   in Loop: Header=BB18_12 Depth=1
	s_and_b64 vcc, exec, s[26:27]
	s_cbranch_vccz .LBB18_49
; %bb.48:                               ;   in Loop: Header=BB18_12 Depth=1
	v_mul_lo_u32 v20, v9, s14
	v_mul_lo_u32 v21, v8, s15
	v_mad_u64_u32 v[10:11], s[12:13], v8, s14, 0
	v_add3_u32 v11, v11, v21, v20
	v_lshlrev_b64 v[10:11], 2, v[10:11]
	v_add_co_u32_e32 v10, vcc, v14, v10
	v_addc_co_u32_e32 v11, vcc, v15, v11, vcc
	global_load_dword v20, v[10:11], off
	v_mul_f32_e32 v21, s10, v7
	s_mov_b64 s[12:13], 0
	s_waitcnt vmcnt(0)
	v_fmac_f32_e32 v21, s28, v20
	global_store_dword v[10:11], v21, off
.LBB18_49:                              ;   in Loop: Header=BB18_12 Depth=1
	s_andn2_b64 vcc, exec, s[12:13]
	s_cbranch_vccnz .LBB18_51
; %bb.50:                               ;   in Loop: Header=BB18_12 Depth=1
	v_lshlrev_b64 v[10:11], 2, v[8:9]
	v_add_co_u32_e32 v10, vcc, v16, v10
	v_addc_co_u32_e32 v11, vcc, v17, v11, vcc
	global_load_dword v20, v[10:11], off
	v_mul_f32_e32 v21, s10, v7
	s_waitcnt vmcnt(0)
	v_fmac_f32_e32 v21, s28, v20
	global_store_dword v[10:11], v21, off
.LBB18_51:                              ;   in Loop: Header=BB18_12 Depth=1
	s_mov_b64 s[12:13], 0
.LBB18_52:                              ;   in Loop: Header=BB18_12 Depth=1
	s_andn2_b64 vcc, exec, s[12:13]
	s_cbranch_vccnz .LBB18_11
; %bb.53:                               ;   in Loop: Header=BB18_12 Depth=1
	v_mul_f32_e32 v7, s10, v7
	s_mov_b64 s[12:13], -1
	s_and_b64 vcc, exec, s[26:27]
	s_cbranch_vccz .LBB18_55
; %bb.54:                               ;   in Loop: Header=BB18_12 Depth=1
	v_mul_lo_u32 v20, v9, s14
	v_mul_lo_u32 v21, v8, s15
	v_mad_u64_u32 v[10:11], s[12:13], v8, s14, 0
	v_add3_u32 v11, v11, v21, v20
	v_lshlrev_b64 v[10:11], 2, v[10:11]
	v_add_co_u32_e32 v10, vcc, v14, v10
	v_addc_co_u32_e32 v11, vcc, v15, v11, vcc
	global_store_dword v[10:11], v7, off
	s_mov_b64 s[12:13], 0
.LBB18_55:                              ;   in Loop: Header=BB18_12 Depth=1
	s_andn2_b64 vcc, exec, s[12:13]
	s_cbranch_vccnz .LBB18_11
; %bb.56:                               ;   in Loop: Header=BB18_12 Depth=1
	v_lshlrev_b64 v[8:9], 2, v[8:9]
	v_add_co_u32_e32 v8, vcc, v16, v8
	v_addc_co_u32_e32 v9, vcc, v17, v9, vcc
	global_store_dword v[8:9], v7, off
	s_branch .LBB18_11
.LBB18_57:
	s_endpgm
	.section	.rodata,"a",@progbits
	.p2align	6, 0x0
	.amdhsa_kernel _ZN9rocsparseL29bsrmm_general_blockdim_kernelILj32ELj32EiiaaffEEvb20rocsparse_direction_T2_S2_llNS_24const_host_device_scalarIT6_EEPKT1_PKS2_PKT3_S2_PKT4_llS5_PT5_ll16rocsparse_order_21rocsparse_index_base_b
		.amdhsa_group_segment_fixed_size 8192
		.amdhsa_private_segment_fixed_size 0
		.amdhsa_kernarg_size 140
		.amdhsa_user_sgpr_count 6
		.amdhsa_user_sgpr_private_segment_buffer 1
		.amdhsa_user_sgpr_dispatch_ptr 0
		.amdhsa_user_sgpr_queue_ptr 0
		.amdhsa_user_sgpr_kernarg_segment_ptr 1
		.amdhsa_user_sgpr_dispatch_id 0
		.amdhsa_user_sgpr_flat_scratch_init 0
		.amdhsa_user_sgpr_kernarg_preload_length 0
		.amdhsa_user_sgpr_kernarg_preload_offset 0
		.amdhsa_user_sgpr_private_segment_size 0
		.amdhsa_uses_dynamic_stack 0
		.amdhsa_system_sgpr_private_segment_wavefront_offset 0
		.amdhsa_system_sgpr_workgroup_id_x 1
		.amdhsa_system_sgpr_workgroup_id_y 1
		.amdhsa_system_sgpr_workgroup_id_z 0
		.amdhsa_system_sgpr_workgroup_info 0
		.amdhsa_system_vgpr_workitem_id 1
		.amdhsa_next_free_vgpr 42
		.amdhsa_next_free_sgpr 48
		.amdhsa_accum_offset 44
		.amdhsa_reserve_vcc 1
		.amdhsa_reserve_flat_scratch 0
		.amdhsa_float_round_mode_32 0
		.amdhsa_float_round_mode_16_64 0
		.amdhsa_float_denorm_mode_32 3
		.amdhsa_float_denorm_mode_16_64 3
		.amdhsa_dx10_clamp 1
		.amdhsa_ieee_mode 1
		.amdhsa_fp16_overflow 0
		.amdhsa_tg_split 0
		.amdhsa_exception_fp_ieee_invalid_op 0
		.amdhsa_exception_fp_denorm_src 0
		.amdhsa_exception_fp_ieee_div_zero 0
		.amdhsa_exception_fp_ieee_overflow 0
		.amdhsa_exception_fp_ieee_underflow 0
		.amdhsa_exception_fp_ieee_inexact 0
		.amdhsa_exception_int_div_zero 0
	.end_amdhsa_kernel
	.section	.text._ZN9rocsparseL29bsrmm_general_blockdim_kernelILj32ELj32EiiaaffEEvb20rocsparse_direction_T2_S2_llNS_24const_host_device_scalarIT6_EEPKT1_PKS2_PKT3_S2_PKT4_llS5_PT5_ll16rocsparse_order_21rocsparse_index_base_b,"axG",@progbits,_ZN9rocsparseL29bsrmm_general_blockdim_kernelILj32ELj32EiiaaffEEvb20rocsparse_direction_T2_S2_llNS_24const_host_device_scalarIT6_EEPKT1_PKS2_PKT3_S2_PKT4_llS5_PT5_ll16rocsparse_order_21rocsparse_index_base_b,comdat
.Lfunc_end18:
	.size	_ZN9rocsparseL29bsrmm_general_blockdim_kernelILj32ELj32EiiaaffEEvb20rocsparse_direction_T2_S2_llNS_24const_host_device_scalarIT6_EEPKT1_PKS2_PKT3_S2_PKT4_llS5_PT5_ll16rocsparse_order_21rocsparse_index_base_b, .Lfunc_end18-_ZN9rocsparseL29bsrmm_general_blockdim_kernelILj32ELj32EiiaaffEEvb20rocsparse_direction_T2_S2_llNS_24const_host_device_scalarIT6_EEPKT1_PKS2_PKT3_S2_PKT4_llS5_PT5_ll16rocsparse_order_21rocsparse_index_base_b
                                        ; -- End function
	.section	.AMDGPU.csdata,"",@progbits
; Kernel info:
; codeLenInByte = 1944
; NumSgprs: 52
; NumVgprs: 42
; NumAgprs: 0
; TotalNumVgprs: 42
; ScratchSize: 0
; MemoryBound: 0
; FloatMode: 240
; IeeeMode: 1
; LDSByteSize: 8192 bytes/workgroup (compile time only)
; SGPRBlocks: 6
; VGPRBlocks: 5
; NumSGPRsForWavesPerEU: 52
; NumVGPRsForWavesPerEU: 42
; AccumOffset: 44
; Occupancy: 8
; WaveLimiterHint : 0
; COMPUTE_PGM_RSRC2:SCRATCH_EN: 0
; COMPUTE_PGM_RSRC2:USER_SGPR: 6
; COMPUTE_PGM_RSRC2:TRAP_HANDLER: 0
; COMPUTE_PGM_RSRC2:TGID_X_EN: 1
; COMPUTE_PGM_RSRC2:TGID_Y_EN: 1
; COMPUTE_PGM_RSRC2:TGID_Z_EN: 0
; COMPUTE_PGM_RSRC2:TIDIG_COMP_CNT: 1
; COMPUTE_PGM_RSRC3_GFX90A:ACCUM_OFFSET: 10
; COMPUTE_PGM_RSRC3_GFX90A:TG_SPLIT: 0
	.section	.text._ZN9rocsparseL29bsrmm_general_blockdim_kernelILj32ELj32EliaaffEEvb20rocsparse_direction_T2_S2_llNS_24const_host_device_scalarIT6_EEPKT1_PKS2_PKT3_S2_PKT4_llS5_PT5_ll16rocsparse_order_21rocsparse_index_base_b,"axG",@progbits,_ZN9rocsparseL29bsrmm_general_blockdim_kernelILj32ELj32EliaaffEEvb20rocsparse_direction_T2_S2_llNS_24const_host_device_scalarIT6_EEPKT1_PKS2_PKT3_S2_PKT4_llS5_PT5_ll16rocsparse_order_21rocsparse_index_base_b,comdat
	.globl	_ZN9rocsparseL29bsrmm_general_blockdim_kernelILj32ELj32EliaaffEEvb20rocsparse_direction_T2_S2_llNS_24const_host_device_scalarIT6_EEPKT1_PKS2_PKT3_S2_PKT4_llS5_PT5_ll16rocsparse_order_21rocsparse_index_base_b ; -- Begin function _ZN9rocsparseL29bsrmm_general_blockdim_kernelILj32ELj32EliaaffEEvb20rocsparse_direction_T2_S2_llNS_24const_host_device_scalarIT6_EEPKT1_PKS2_PKT3_S2_PKT4_llS5_PT5_ll16rocsparse_order_21rocsparse_index_base_b
	.p2align	8
	.type	_ZN9rocsparseL29bsrmm_general_blockdim_kernelILj32ELj32EliaaffEEvb20rocsparse_direction_T2_S2_llNS_24const_host_device_scalarIT6_EEPKT1_PKS2_PKT3_S2_PKT4_llS5_PT5_ll16rocsparse_order_21rocsparse_index_base_b,@function
_ZN9rocsparseL29bsrmm_general_blockdim_kernelILj32ELj32EliaaffEEvb20rocsparse_direction_T2_S2_llNS_24const_host_device_scalarIT6_EEPKT1_PKS2_PKT3_S2_PKT4_llS5_PT5_ll16rocsparse_order_21rocsparse_index_base_b: ; @_ZN9rocsparseL29bsrmm_general_blockdim_kernelILj32ELj32EliaaffEEvb20rocsparse_direction_T2_S2_llNS_24const_host_device_scalarIT6_EEPKT1_PKS2_PKT3_S2_PKT4_llS5_PT5_ll16rocsparse_order_21rocsparse_index_base_b
; %bb.0:
	s_load_dwordx4 s[8:11], s[4:5], 0x80
	s_mov_b32 s0, s7
	s_waitcnt lgkmcnt(0)
	s_bitcmp1_b32 s10, 0
	s_load_dwordx2 s[10:11], s[4:5], 0x20
	s_load_dwordx2 s[28:29], s[4:5], 0x60
	s_cselect_b64 s[12:13], -1, 0
	s_xor_b64 s[2:3], s[12:13], -1
	s_and_b64 vcc, exec, s[12:13]
	s_cbranch_vccnz .LBB19_2
; %bb.1:
	s_waitcnt lgkmcnt(0)
	s_load_dword s10, s[10:11], 0x0
.LBB19_2:
	s_andn2_b64 vcc, exec, s[2:3]
	s_cbranch_vccnz .LBB19_4
; %bb.3:
	s_waitcnt lgkmcnt(0)
	s_load_dword s28, s[28:29], 0x0
.LBB19_4:
	s_waitcnt lgkmcnt(0)
	v_cmp_eq_f32_e64 s[2:3], s10, 0
	v_cmp_eq_f32_e64 s[12:13], s28, 1.0
	s_and_b64 s[2:3], s[2:3], s[12:13]
	s_and_b64 vcc, exec, s[2:3]
	s_cbranch_vccnz .LBB19_53
; %bb.5:
	s_load_dwordx4 s[24:27], s[4:5], 0x0
	s_load_dwordx2 s[12:13], s[4:5], 0x28
	s_mov_b64 s[30:31], 0
	s_mov_b64 s[34:35], 0
	s_waitcnt lgkmcnt(0)
	s_cmp_lt_i32 s6, s26
	s_cselect_b64 s[2:3], -1, 0
	s_cmp_ge_i32 s6, s26
	s_cbranch_scc0 .LBB19_8
; %bb.6:
	s_andn2_b64 vcc, exec, s[2:3]
	s_cbranch_vccz .LBB19_9
.LBB19_7:
	s_load_dword s11, s[4:5], 0x40
	s_waitcnt lgkmcnt(0)
	s_cmp_lt_i32 s11, 1
	s_cbranch_scc0 .LBB19_10
	s_branch .LBB19_53
.LBB19_8:
	s_ashr_i32 s7, s6, 31
	s_lshl_b64 s[14:15], s[6:7], 3
	s_add_u32 s14, s12, s14
	s_addc_u32 s15, s13, s15
	s_load_dwordx2 s[14:15], s[14:15], 0x0
	s_waitcnt lgkmcnt(0)
	s_sub_u32 s34, s14, s9
	s_subb_u32 s35, s15, 0
	s_andn2_b64 vcc, exec, s[2:3]
	s_cbranch_vccnz .LBB19_7
.LBB19_9:
	s_ashr_i32 s7, s6, 31
	s_lshl_b64 s[14:15], s[6:7], 3
	s_add_u32 s12, s12, s14
	s_addc_u32 s13, s13, s15
	s_load_dwordx2 s[12:13], s[12:13], 0x8
	s_waitcnt lgkmcnt(0)
	s_sub_u32 s30, s12, s9
	s_subb_u32 s31, s13, 0
	s_load_dword s11, s[4:5], 0x40
	s_waitcnt lgkmcnt(0)
	s_cmp_lt_i32 s11, 1
	s_cbranch_scc1 .LBB19_53
.LBB19_10:
	s_load_dwordx4 s[12:15], s[4:5], 0x68
	s_load_dwordx4 s[16:19], s[4:5], 0x30
	;; [unrolled: 1-line block ×3, first 2 shown]
	v_bfe_u32 v7, v0, 10, 10
	s_bitcmp1_b32 s24, 0
	v_and_b32_e32 v6, 0x3ff, v0
	s_cselect_b64 s[4:5], -1, 0
	v_lshl_add_u32 v4, s0, 5, v7
	v_lshlrev_b32_e32 v2, 5, v7
	s_xor_b64 s[36:37], s[4:5], -1
	v_ashrrev_i32_e32 v5, 31, v4
	v_add_lshl_u32 v8, v2, v6, 2
	s_waitcnt lgkmcnt(0)
	v_pk_mov_b32 v[2:3], s[20:21], s[20:21] op_sel:[0,1]
	v_cmp_gt_i32_e64 s[0:1], s27, v4
	v_mov_b32_e32 v1, s21
	v_add_co_u32_e32 v0, vcc, s20, v4
	v_mul_lo_u32 v10, v5, s22
	v_mul_lo_u32 v11, v4, s23
	v_mad_u64_u32 v[2:3], s[4:5], v4, s22, v[2:3]
	s_cmp_lg_u32 s25, 0
	s_mul_i32 s29, s6, s11
	v_addc_co_u32_e32 v1, vcc, v1, v5, vcc
	v_add3_u32 v3, v10, v3, v11
	s_cselect_b64 s[6:7], -1, 0
	s_and_b64 s[20:21], s[2:3], s[0:1]
	v_lshlrev_b64 v[10:11], 2, v[4:5]
	v_mul_lo_u32 v12, v5, s14
	v_mul_lo_u32 v14, v4, s15
	v_mad_u64_u32 v[4:5], s[2:3], v4, s14, 0
	v_mov_b32_e32 v13, s13
	v_add_co_u32_e32 v10, vcc, s12, v10
	v_add3_u32 v5, v5, v14, v12
	v_addc_co_u32_e32 v11, vcc, v13, v11, vcc
	v_lshlrev_b64 v[4:5], 2, v[4:5]
	v_add_co_u32_e32 v12, vcc, s12, v4
	v_pk_mov_b32 v[16:17], s[30:31], s[30:31] op_sel:[0,1]
	v_addc_co_u32_e32 v13, vcc, v13, v5, vcc
	v_mov_b32_e32 v4, 0x1000
	v_cmp_lt_i64_e32 vcc, s[34:35], v[16:17]
	s_cmp_lg_u32 s8, 1
	v_lshl_add_u32 v15, v7, 7, v4
	v_cndmask_b32_e64 v4, 0, 1, vcc
	v_add_u32_e32 v9, 0x1000, v8
	s_mov_b32 s33, 0
	s_mul_i32 s46, s11, s11
	v_cmp_neq_f32_e64 s[24:25], s28, 0
	s_cselect_b64 s[26:27], -1, 0
	v_lshlrev_b32_e32 v14, 2, v6
	v_cmp_ne_u32_e64 s[2:3], 1, v4
	s_branch .LBB19_12
.LBB19_11:                              ;   in Loop: Header=BB19_12 Depth=1
	s_or_b64 exec, exec, s[4:5]
	s_add_i32 s33, s33, 32
	s_cmp_lt_i32 s33, s11
	s_cbranch_scc0 .LBB19_53
.LBB19_12:                              ; =>This Loop Header: Depth=1
                                        ;     Child Loop BB19_15 Depth 2
                                        ;       Child Loop BB19_17 Depth 3
	v_add_u32_e32 v17, s33, v6
	s_and_b64 vcc, exec, s[2:3]
	v_mov_b32_e32 v16, 0
	v_cmp_gt_i32_e64 s[4:5], s11, v17
	s_cbranch_vccnz .LBB19_41
; %bb.13:                               ;   in Loop: Header=BB19_12 Depth=1
	v_mul_lo_u32 v18, v17, s11
	v_mov_b32_e32 v16, 0
	s_mov_b64 s[12:13], s[34:35]
	s_branch .LBB19_15
.LBB19_14:                              ;   in Loop: Header=BB19_15 Depth=2
	s_add_u32 s12, s12, 1
	s_addc_u32 s13, s13, 0
	v_pk_mov_b32 v[4:5], s[30:31], s[30:31] op_sel:[0,1]
	v_cmp_ge_i64_e32 vcc, s[12:13], v[4:5]
	s_cbranch_vccnz .LBB19_41
.LBB19_15:                              ;   Parent Loop BB19_12 Depth=1
                                        ; =>  This Loop Header: Depth=2
                                        ;       Child Loop BB19_17 Depth 3
	s_lshl_b64 s[38:39], s[12:13], 2
	s_add_u32 s38, s16, s38
	s_addc_u32 s39, s17, s39
	s_load_dword s8, s[38:39], 0x0
	s_mul_i32 s38, s13, s46
	s_mul_hi_u32 s39, s12, s46
	s_mul_i32 s40, s12, s46
	s_add_i32 s39, s39, s38
	s_waitcnt lgkmcnt(0)
	s_sub_i32 s8, s8, s9
	s_mul_i32 s38, s8, s11
	s_add_u32 s8, s18, s40
	s_addc_u32 s47, s19, s39
	v_add_u32_e32 v19, s38, v6
	s_mov_b32 s48, 0
	s_branch .LBB19_17
.LBB19_16:                              ;   in Loop: Header=BB19_17 Depth=3
	s_or_b64 exec, exec, s[38:39]
	ds_write_b32 v8, v20
	s_waitcnt lgkmcnt(0)
	s_barrier
	ds_read2_b32 v[4:5], v14 offset1:32
	ds_read_b128 v[20:23], v15
	ds_read_b128 v[24:27], v15 offset:16
	ds_read2_b32 v[36:37], v14 offset0:64 offset1:96
	ds_read_b128 v[28:31], v15 offset:32
	ds_read_b128 v[32:35], v15 offset:48
	ds_read2_b32 v[38:39], v14 offset0:128 offset1:160
	s_waitcnt lgkmcnt(5)
	v_fmac_f32_e32 v16, v4, v20
	v_fmac_f32_e32 v16, v5, v21
	ds_read2_b32 v[4:5], v14 offset0:192 offset1:224
	s_waitcnt lgkmcnt(4)
	v_fmac_f32_e32 v16, v36, v22
	v_fmac_f32_e32 v16, v37, v23
	s_waitcnt lgkmcnt(1)
	v_fmac_f32_e32 v16, v38, v24
	v_add_u32_e32 v24, 0x400, v14
	ds_read2_b32 v[20:21], v24 offset1:32
	v_fmac_f32_e32 v16, v39, v25
	s_waitcnt lgkmcnt(1)
	v_fmac_f32_e32 v16, v4, v26
	v_fmac_f32_e32 v16, v5, v27
	ds_read2_b32 v[4:5], v24 offset0:64 offset1:96
	ds_read2_b32 v[22:23], v24 offset0:128 offset1:160
	s_waitcnt lgkmcnt(2)
	v_fmac_f32_e32 v16, v20, v28
	v_fmac_f32_e32 v16, v21, v29
	ds_read2_b32 v[24:25], v24 offset0:192 offset1:224
	s_waitcnt lgkmcnt(2)
	v_fmac_f32_e32 v16, v4, v30
	v_fmac_f32_e32 v16, v5, v31
	s_waitcnt lgkmcnt(1)
	v_fmac_f32_e32 v16, v22, v32
	v_add_u32_e32 v32, 0x800, v14
	v_fmac_f32_e32 v16, v23, v33
	ds_read2_b32 v[4:5], v32 offset1:32
	ds_read_b128 v[20:23], v15 offset:64
	s_waitcnt lgkmcnt(2)
	v_fmac_f32_e32 v16, v24, v34
	v_fmac_f32_e32 v16, v25, v35
	ds_read2_b32 v[28:29], v32 offset0:64 offset1:96
	ds_read2_b32 v[30:31], v32 offset0:128 offset1:160
	ds_read_b128 v[24:27], v15 offset:80
	s_add_i32 s48, s48, 32
	s_waitcnt lgkmcnt(3)
	v_fmac_f32_e32 v16, v4, v20
	v_fmac_f32_e32 v16, v5, v21
	ds_read2_b32 v[4:5], v32 offset0:192 offset1:224
	s_waitcnt lgkmcnt(3)
	v_fmac_f32_e32 v16, v28, v22
	v_fmac_f32_e32 v16, v29, v23
	v_add_u32_e32 v32, 0xc00, v14
	s_waitcnt lgkmcnt(1)
	v_fmac_f32_e32 v16, v30, v24
	ds_read2_b32 v[28:29], v32 offset1:32
	ds_read_b128 v[20:23], v15 offset:96
	v_fmac_f32_e32 v16, v31, v25
	s_waitcnt lgkmcnt(2)
	v_fmac_f32_e32 v16, v4, v26
	v_fmac_f32_e32 v16, v5, v27
	ds_read2_b32 v[4:5], v32 offset0:64 offset1:96
	ds_read_b128 v[24:27], v15 offset:112
	ds_read2_b32 v[30:31], v32 offset0:128 offset1:160
	s_waitcnt lgkmcnt(3)
	v_fmac_f32_e32 v16, v28, v20
	v_fmac_f32_e32 v16, v29, v21
	ds_read2_b32 v[20:21], v32 offset0:192 offset1:224
	s_waitcnt lgkmcnt(3)
	v_fmac_f32_e32 v16, v4, v22
	v_fmac_f32_e32 v16, v5, v23
	s_waitcnt lgkmcnt(1)
	v_fmac_f32_e32 v16, v30, v24
	v_fmac_f32_e32 v16, v31, v25
	;; [unrolled: 3-line block ×3, first 2 shown]
	s_cmp_ge_i32 s48, s11
	s_barrier
	s_cbranch_scc1 .LBB19_14
.LBB19_17:                              ;   Parent Loop BB19_12 Depth=1
                                        ;     Parent Loop BB19_15 Depth=2
                                        ; =>    This Inner Loop Header: Depth=3
	s_and_b64 vcc, exec, s[36:37]
	s_cbranch_vccz .LBB19_23
; %bb.18:                               ;   in Loop: Header=BB19_17 Depth=3
	s_mov_b64 s[40:41], 0
	s_mov_b64 s[38:39], 0
                                        ; implicit-def: $vgpr4_vgpr5
	s_and_saveexec_b64 s[42:43], s[0:1]
	s_cbranch_execz .LBB19_22
; %bb.19:                               ;   in Loop: Header=BB19_17 Depth=3
	v_add_u32_e32 v4, s48, v6
	v_cmp_gt_i32_e32 vcc, s11, v4
                                        ; implicit-def: $vgpr4_vgpr5
	s_and_saveexec_b64 s[44:45], vcc
	s_xor_b64 s[44:45], exec, s[44:45]
; %bb.20:                               ;   in Loop: Header=BB19_17 Depth=3
	v_add_u32_e32 v4, s48, v19
	v_ashrrev_i32_e32 v5, 31, v4
	v_mul_lo_u32 v20, v5, s22
	v_mul_lo_u32 v21, v4, s23
	v_mad_u64_u32 v[4:5], s[50:51], v4, s22, v[0:1]
	s_mov_b64 s[38:39], exec
	v_add3_u32 v5, v20, v5, v21
; %bb.21:                               ;   in Loop: Header=BB19_17 Depth=3
	s_or_b64 exec, exec, s[44:45]
	s_and_b64 s[38:39], s[38:39], exec
.LBB19_22:                              ;   in Loop: Header=BB19_17 Depth=3
	s_or_b64 exec, exec, s[42:43]
	s_mov_b32 s42, 0
	s_and_b64 vcc, exec, s[40:41]
	s_cbranch_vccnz .LBB19_24
	s_branch .LBB19_29
.LBB19_23:                              ;   in Loop: Header=BB19_17 Depth=3
	s_mov_b64 s[38:39], 0
                                        ; implicit-def: $vgpr4_vgpr5
                                        ; implicit-def: $sgpr42
	s_cbranch_execz .LBB19_29
.LBB19_24:                              ;   in Loop: Header=BB19_17 Depth=3
                                        ; implicit-def: $vgpr4_vgpr5
	s_and_saveexec_b64 s[40:41], s[0:1]
	s_cbranch_execz .LBB19_28
; %bb.25:                               ;   in Loop: Header=BB19_17 Depth=3
	v_add_u32_e32 v4, s48, v6
	v_cmp_gt_i32_e32 vcc, s11, v4
	s_mov_b64 s[44:45], s[38:39]
                                        ; implicit-def: $vgpr4_vgpr5
	s_and_saveexec_b64 s[42:43], vcc
; %bb.26:                               ;   in Loop: Header=BB19_17 Depth=3
	v_add_u32_e32 v4, s48, v19
	v_ashrrev_i32_e32 v5, 31, v4
	v_add_co_u32_e32 v4, vcc, v2, v4
	v_addc_co_u32_e32 v5, vcc, v3, v5, vcc
	s_or_b64 s[44:45], s[38:39], exec
; %bb.27:                               ;   in Loop: Header=BB19_17 Depth=3
	s_or_b64 exec, exec, s[42:43]
	s_andn2_b64 s[38:39], s[38:39], exec
	s_and_b64 s[42:43], s[44:45], exec
	s_or_b64 s[38:39], s[38:39], s[42:43]
.LBB19_28:                              ;   in Loop: Header=BB19_17 Depth=3
	s_or_b64 exec, exec, s[40:41]
	s_mov_b32 s42, 0
.LBB19_29:                              ;   in Loop: Header=BB19_17 Depth=3
	v_mov_b32_e32 v20, s42
	s_and_saveexec_b64 s[40:41], s[38:39]
	s_cbranch_execnz .LBB19_39
; %bb.30:                               ;   in Loop: Header=BB19_17 Depth=3
	s_or_b64 exec, exec, s[40:41]
	s_and_b64 vcc, exec, s[6:7]
	ds_write_b32 v9, v20
	s_cbranch_vccz .LBB19_40
.LBB19_31:                              ;   in Loop: Header=BB19_17 Depth=3
	s_mov_b64 s[38:39], 0
	s_mov_b64 s[40:41], 0
                                        ; implicit-def: $vgpr4
	s_and_saveexec_b64 s[42:43], s[4:5]
	s_cbranch_execz .LBB19_35
; %bb.32:                               ;   in Loop: Header=BB19_17 Depth=3
	v_add_u32_e32 v5, s48, v7
	v_cmp_gt_i32_e32 vcc, s11, v5
                                        ; implicit-def: $vgpr4
	s_and_saveexec_b64 s[44:45], vcc
	s_xor_b64 s[44:45], exec, s[44:45]
; %bb.33:                               ;   in Loop: Header=BB19_17 Depth=3
	s_mov_b64 s[40:41], exec
	v_mul_lo_u32 v4, v5, s11
; %bb.34:                               ;   in Loop: Header=BB19_17 Depth=3
	s_or_b64 exec, exec, s[44:45]
	s_and_b64 s[40:41], s[40:41], exec
.LBB19_35:                              ;   in Loop: Header=BB19_17 Depth=3
	s_or_b64 exec, exec, s[42:43]
	s_mov_b32 s42, 0
	v_mov_b32_e32 v5, v17
	s_and_b64 vcc, exec, s[38:39]
	s_cbranch_vccz .LBB19_37
.LBB19_36:                              ;   in Loop: Header=BB19_17 Depth=3
	v_add_u32_e32 v4, s48, v7
	v_cmp_gt_i32_e32 vcc, s11, v4
	s_and_b64 s[38:39], s[4:5], vcc
	s_andn2_b64 s[40:41], s[40:41], exec
	s_and_b64 s[38:39], s[38:39], exec
	s_mov_b32 s42, 0
	s_or_b64 s[40:41], s[40:41], s[38:39]
	v_mov_b32_e32 v5, v18
.LBB19_37:                              ;   in Loop: Header=BB19_17 Depth=3
	v_mov_b32_e32 v20, s42
	s_and_saveexec_b64 s[38:39], s[40:41]
	s_cbranch_execz .LBB19_16
; %bb.38:                               ;   in Loop: Header=BB19_17 Depth=3
	v_ashrrev_i32_e32 v20, 31, v5
	v_mov_b32_e32 v21, s47
	v_add_co_u32_e32 v5, vcc, s8, v5
	v_addc_co_u32_e32 v20, vcc, v21, v20, vcc
	v_ashrrev_i32_e32 v21, 31, v4
	v_add_co_u32_e32 v4, vcc, v5, v4
	v_addc_co_u32_e32 v5, vcc, v20, v21, vcc
	global_load_sbyte v4, v[4:5], off
	s_waitcnt vmcnt(0)
	v_cvt_f32_i32_e32 v20, v4
	s_branch .LBB19_16
.LBB19_39:                              ;   in Loop: Header=BB19_17 Depth=3
	global_load_sbyte v4, v[4:5], off
	s_waitcnt vmcnt(0)
	v_cvt_f32_i32_e32 v20, v4
	s_or_b64 exec, exec, s[40:41]
	s_and_b64 vcc, exec, s[6:7]
	ds_write_b32 v9, v20
	s_cbranch_vccnz .LBB19_31
.LBB19_40:                              ;   in Loop: Header=BB19_17 Depth=3
	s_mov_b64 s[40:41], 0
                                        ; implicit-def: $vgpr5
                                        ; implicit-def: $vgpr4
                                        ; implicit-def: $sgpr42
	s_cbranch_execnz .LBB19_36
	s_branch .LBB19_37
.LBB19_41:                              ;   in Loop: Header=BB19_12 Depth=1
	v_cmp_gt_i32_e32 vcc, s11, v17
	s_and_b64 s[12:13], s[20:21], vcc
	s_and_saveexec_b64 s[4:5], s[12:13]
	s_cbranch_execz .LBB19_11
; %bb.42:                               ;   in Loop: Header=BB19_12 Depth=1
	v_add_u32_e32 v4, s29, v17
	s_and_b64 vcc, exec, s[24:25]
	v_ashrrev_i32_e32 v5, 31, v4
	s_mov_b64 s[12:13], -1
	s_cbranch_vccz .LBB19_48
; %bb.43:                               ;   in Loop: Header=BB19_12 Depth=1
	s_and_b64 vcc, exec, s[26:27]
	s_cbranch_vccz .LBB19_45
; %bb.44:                               ;   in Loop: Header=BB19_12 Depth=1
	v_mul_lo_u32 v17, v5, s14
	v_mul_lo_u32 v20, v4, s15
	v_mad_u64_u32 v[18:19], s[12:13], v4, s14, 0
	v_add3_u32 v19, v19, v20, v17
	v_lshlrev_b64 v[18:19], 2, v[18:19]
	v_add_co_u32_e32 v18, vcc, v10, v18
	v_addc_co_u32_e32 v19, vcc, v11, v19, vcc
	global_load_dword v17, v[18:19], off
	v_mul_f32_e32 v20, s10, v16
	s_mov_b64 s[12:13], 0
	s_waitcnt vmcnt(0)
	v_fmac_f32_e32 v20, s28, v17
	global_store_dword v[18:19], v20, off
.LBB19_45:                              ;   in Loop: Header=BB19_12 Depth=1
	s_andn2_b64 vcc, exec, s[12:13]
	s_cbranch_vccnz .LBB19_47
; %bb.46:                               ;   in Loop: Header=BB19_12 Depth=1
	v_lshlrev_b64 v[18:19], 2, v[4:5]
	v_add_co_u32_e32 v18, vcc, v12, v18
	v_addc_co_u32_e32 v19, vcc, v13, v19, vcc
	global_load_dword v17, v[18:19], off
	v_mul_f32_e32 v20, s10, v16
	s_waitcnt vmcnt(0)
	v_fmac_f32_e32 v20, s28, v17
	global_store_dword v[18:19], v20, off
.LBB19_47:                              ;   in Loop: Header=BB19_12 Depth=1
	s_mov_b64 s[12:13], 0
.LBB19_48:                              ;   in Loop: Header=BB19_12 Depth=1
	s_andn2_b64 vcc, exec, s[12:13]
	s_cbranch_vccnz .LBB19_11
; %bb.49:                               ;   in Loop: Header=BB19_12 Depth=1
	v_mul_f32_e32 v16, s10, v16
	s_mov_b64 s[12:13], -1
	s_and_b64 vcc, exec, s[26:27]
	s_cbranch_vccz .LBB19_51
; %bb.50:                               ;   in Loop: Header=BB19_12 Depth=1
	v_mul_lo_u32 v17, v5, s14
	v_mul_lo_u32 v20, v4, s15
	v_mad_u64_u32 v[18:19], s[12:13], v4, s14, 0
	v_add3_u32 v19, v19, v20, v17
	v_lshlrev_b64 v[18:19], 2, v[18:19]
	v_add_co_u32_e32 v18, vcc, v10, v18
	v_addc_co_u32_e32 v19, vcc, v11, v19, vcc
	global_store_dword v[18:19], v16, off
	s_mov_b64 s[12:13], 0
.LBB19_51:                              ;   in Loop: Header=BB19_12 Depth=1
	s_andn2_b64 vcc, exec, s[12:13]
	s_cbranch_vccnz .LBB19_11
; %bb.52:                               ;   in Loop: Header=BB19_12 Depth=1
	v_lshlrev_b64 v[4:5], 2, v[4:5]
	v_add_co_u32_e32 v4, vcc, v12, v4
	v_addc_co_u32_e32 v5, vcc, v13, v5, vcc
	global_store_dword v[4:5], v16, off
	s_branch .LBB19_11
.LBB19_53:
	s_endpgm
	.section	.rodata,"a",@progbits
	.p2align	6, 0x0
	.amdhsa_kernel _ZN9rocsparseL29bsrmm_general_blockdim_kernelILj32ELj32EliaaffEEvb20rocsparse_direction_T2_S2_llNS_24const_host_device_scalarIT6_EEPKT1_PKS2_PKT3_S2_PKT4_llS5_PT5_ll16rocsparse_order_21rocsparse_index_base_b
		.amdhsa_group_segment_fixed_size 8192
		.amdhsa_private_segment_fixed_size 0
		.amdhsa_kernarg_size 140
		.amdhsa_user_sgpr_count 6
		.amdhsa_user_sgpr_private_segment_buffer 1
		.amdhsa_user_sgpr_dispatch_ptr 0
		.amdhsa_user_sgpr_queue_ptr 0
		.amdhsa_user_sgpr_kernarg_segment_ptr 1
		.amdhsa_user_sgpr_dispatch_id 0
		.amdhsa_user_sgpr_flat_scratch_init 0
		.amdhsa_user_sgpr_kernarg_preload_length 0
		.amdhsa_user_sgpr_kernarg_preload_offset 0
		.amdhsa_user_sgpr_private_segment_size 0
		.amdhsa_uses_dynamic_stack 0
		.amdhsa_system_sgpr_private_segment_wavefront_offset 0
		.amdhsa_system_sgpr_workgroup_id_x 1
		.amdhsa_system_sgpr_workgroup_id_y 1
		.amdhsa_system_sgpr_workgroup_id_z 0
		.amdhsa_system_sgpr_workgroup_info 0
		.amdhsa_system_vgpr_workitem_id 1
		.amdhsa_next_free_vgpr 40
		.amdhsa_next_free_sgpr 52
		.amdhsa_accum_offset 40
		.amdhsa_reserve_vcc 1
		.amdhsa_reserve_flat_scratch 0
		.amdhsa_float_round_mode_32 0
		.amdhsa_float_round_mode_16_64 0
		.amdhsa_float_denorm_mode_32 3
		.amdhsa_float_denorm_mode_16_64 3
		.amdhsa_dx10_clamp 1
		.amdhsa_ieee_mode 1
		.amdhsa_fp16_overflow 0
		.amdhsa_tg_split 0
		.amdhsa_exception_fp_ieee_invalid_op 0
		.amdhsa_exception_fp_denorm_src 0
		.amdhsa_exception_fp_ieee_div_zero 0
		.amdhsa_exception_fp_ieee_overflow 0
		.amdhsa_exception_fp_ieee_underflow 0
		.amdhsa_exception_fp_ieee_inexact 0
		.amdhsa_exception_int_div_zero 0
	.end_amdhsa_kernel
	.section	.text._ZN9rocsparseL29bsrmm_general_blockdim_kernelILj32ELj32EliaaffEEvb20rocsparse_direction_T2_S2_llNS_24const_host_device_scalarIT6_EEPKT1_PKS2_PKT3_S2_PKT4_llS5_PT5_ll16rocsparse_order_21rocsparse_index_base_b,"axG",@progbits,_ZN9rocsparseL29bsrmm_general_blockdim_kernelILj32ELj32EliaaffEEvb20rocsparse_direction_T2_S2_llNS_24const_host_device_scalarIT6_EEPKT1_PKS2_PKT3_S2_PKT4_llS5_PT5_ll16rocsparse_order_21rocsparse_index_base_b,comdat
.Lfunc_end19:
	.size	_ZN9rocsparseL29bsrmm_general_blockdim_kernelILj32ELj32EliaaffEEvb20rocsparse_direction_T2_S2_llNS_24const_host_device_scalarIT6_EEPKT1_PKS2_PKT3_S2_PKT4_llS5_PT5_ll16rocsparse_order_21rocsparse_index_base_b, .Lfunc_end19-_ZN9rocsparseL29bsrmm_general_blockdim_kernelILj32ELj32EliaaffEEvb20rocsparse_direction_T2_S2_llNS_24const_host_device_scalarIT6_EEPKT1_PKS2_PKT3_S2_PKT4_llS5_PT5_ll16rocsparse_order_21rocsparse_index_base_b
                                        ; -- End function
	.section	.AMDGPU.csdata,"",@progbits
; Kernel info:
; codeLenInByte = 1932
; NumSgprs: 56
; NumVgprs: 40
; NumAgprs: 0
; TotalNumVgprs: 40
; ScratchSize: 0
; MemoryBound: 0
; FloatMode: 240
; IeeeMode: 1
; LDSByteSize: 8192 bytes/workgroup (compile time only)
; SGPRBlocks: 6
; VGPRBlocks: 4
; NumSGPRsForWavesPerEU: 56
; NumVGPRsForWavesPerEU: 40
; AccumOffset: 40
; Occupancy: 8
; WaveLimiterHint : 0
; COMPUTE_PGM_RSRC2:SCRATCH_EN: 0
; COMPUTE_PGM_RSRC2:USER_SGPR: 6
; COMPUTE_PGM_RSRC2:TRAP_HANDLER: 0
; COMPUTE_PGM_RSRC2:TGID_X_EN: 1
; COMPUTE_PGM_RSRC2:TGID_Y_EN: 1
; COMPUTE_PGM_RSRC2:TGID_Z_EN: 0
; COMPUTE_PGM_RSRC2:TIDIG_COMP_CNT: 1
; COMPUTE_PGM_RSRC3_GFX90A:ACCUM_OFFSET: 9
; COMPUTE_PGM_RSRC3_GFX90A:TG_SPLIT: 0
	.section	.text._ZN9rocsparseL29bsrmm_general_blockdim_kernelILj32ELj32EllaaffEEvb20rocsparse_direction_T2_S2_llNS_24const_host_device_scalarIT6_EEPKT1_PKS2_PKT3_S2_PKT4_llS5_PT5_ll16rocsparse_order_21rocsparse_index_base_b,"axG",@progbits,_ZN9rocsparseL29bsrmm_general_blockdim_kernelILj32ELj32EllaaffEEvb20rocsparse_direction_T2_S2_llNS_24const_host_device_scalarIT6_EEPKT1_PKS2_PKT3_S2_PKT4_llS5_PT5_ll16rocsparse_order_21rocsparse_index_base_b,comdat
	.globl	_ZN9rocsparseL29bsrmm_general_blockdim_kernelILj32ELj32EllaaffEEvb20rocsparse_direction_T2_S2_llNS_24const_host_device_scalarIT6_EEPKT1_PKS2_PKT3_S2_PKT4_llS5_PT5_ll16rocsparse_order_21rocsparse_index_base_b ; -- Begin function _ZN9rocsparseL29bsrmm_general_blockdim_kernelILj32ELj32EllaaffEEvb20rocsparse_direction_T2_S2_llNS_24const_host_device_scalarIT6_EEPKT1_PKS2_PKT3_S2_PKT4_llS5_PT5_ll16rocsparse_order_21rocsparse_index_base_b
	.p2align	8
	.type	_ZN9rocsparseL29bsrmm_general_blockdim_kernelILj32ELj32EllaaffEEvb20rocsparse_direction_T2_S2_llNS_24const_host_device_scalarIT6_EEPKT1_PKS2_PKT3_S2_PKT4_llS5_PT5_ll16rocsparse_order_21rocsparse_index_base_b,@function
_ZN9rocsparseL29bsrmm_general_blockdim_kernelILj32ELj32EllaaffEEvb20rocsparse_direction_T2_S2_llNS_24const_host_device_scalarIT6_EEPKT1_PKS2_PKT3_S2_PKT4_llS5_PT5_ll16rocsparse_order_21rocsparse_index_base_b: ; @_ZN9rocsparseL29bsrmm_general_blockdim_kernelILj32ELj32EllaaffEEvb20rocsparse_direction_T2_S2_llNS_24const_host_device_scalarIT6_EEPKT1_PKS2_PKT3_S2_PKT4_llS5_PT5_ll16rocsparse_order_21rocsparse_index_base_b
; %bb.0:
	s_load_dwordx4 s[20:23], s[4:5], 0x88
	s_mov_b32 s0, s7
	s_waitcnt lgkmcnt(0)
	s_bitcmp1_b32 s22, 0
	s_load_dwordx2 s[22:23], s[4:5], 0x28
	s_load_dwordx2 s[28:29], s[4:5], 0x68
	s_cselect_b64 s[8:9], -1, 0
	s_xor_b64 s[2:3], s[8:9], -1
	s_and_b64 vcc, exec, s[8:9]
	s_cbranch_vccnz .LBB20_2
; %bb.1:
	s_waitcnt lgkmcnt(0)
	s_load_dword s22, s[22:23], 0x0
.LBB20_2:
	s_andn2_b64 vcc, exec, s[2:3]
	s_cbranch_vccnz .LBB20_4
; %bb.3:
	s_waitcnt lgkmcnt(0)
	s_load_dword s28, s[28:29], 0x0
.LBB20_4:
	s_waitcnt lgkmcnt(0)
	v_cmp_eq_f32_e64 s[2:3], s22, 0
	v_cmp_eq_f32_e64 s[8:9], s28, 1.0
	s_and_b64 s[2:3], s[2:3], s[8:9]
	s_and_b64 vcc, exec, s[2:3]
	s_cbranch_vccnz .LBB20_57
; %bb.5:
	s_load_dwordx4 s[24:27], s[4:5], 0x8
	s_load_dwordx2 s[8:9], s[4:5], 0x30
	s_ashr_i32 s7, s6, 31
	s_mov_b64 s[30:31], 0
	s_waitcnt lgkmcnt(0)
	v_pk_mov_b32 v[2:3], s[24:25], s[24:25] op_sel:[0,1]
	v_cmp_ge_i64_e32 vcc, s[6:7], v[2:3]
	v_cmp_lt_i64_e64 s[2:3], s[6:7], v[2:3]
	s_mov_b64 s[24:25], 0
	s_cbranch_vccz .LBB20_8
; %bb.6:
	s_andn2_b64 vcc, exec, s[2:3]
	s_cbranch_vccz .LBB20_9
.LBB20_7:
	s_load_dwordx2 s[34:35], s[4:5], 0x48
	s_waitcnt lgkmcnt(0)
	v_cmp_lt_i64_e64 s[8:9], s[34:35], 1
	s_and_b64 vcc, exec, s[8:9]
	s_cbranch_vccz .LBB20_10
	s_branch .LBB20_57
.LBB20_8:
	s_lshl_b64 s[10:11], s[6:7], 3
	s_add_u32 s10, s8, s10
	s_addc_u32 s11, s9, s11
	s_load_dwordx2 s[10:11], s[10:11], 0x0
	s_waitcnt lgkmcnt(0)
	s_sub_u32 s24, s10, s21
	s_subb_u32 s25, s11, 0
	s_andn2_b64 vcc, exec, s[2:3]
	s_cbranch_vccnz .LBB20_7
.LBB20_9:
	s_lshl_b64 s[10:11], s[6:7], 3
	s_add_u32 s8, s8, s10
	s_addc_u32 s9, s9, s11
	s_load_dwordx2 s[8:9], s[8:9], 0x8
	s_waitcnt lgkmcnt(0)
	s_sub_u32 s30, s8, s21
	s_subb_u32 s31, s9, 0
	s_load_dwordx2 s[34:35], s[4:5], 0x48
	s_waitcnt lgkmcnt(0)
	v_cmp_lt_i64_e64 s[8:9], s[34:35], 1
	s_and_b64 vcc, exec, s[8:9]
	s_cbranch_vccnz .LBB20_57
.LBB20_10:
	s_load_dwordx4 s[8:11], s[4:5], 0x70
	s_load_dwordx4 s[12:15], s[4:5], 0x50
	;; [unrolled: 1-line block ×3, first 2 shown]
	s_load_dwordx2 s[38:39], s[4:5], 0x0
	v_bfe_u32 v2, v0, 10, 10
	v_lshl_add_u32 v6, s0, 5, v2
	v_mov_b32_e32 v7, 0
	v_lshlrev_b64 v[4:5], 2, v[6:7]
	s_waitcnt lgkmcnt(0)
	s_bitcmp1_b32 s38, 0
	s_cselect_b64 s[0:1], -1, 0
	s_xor_b64 s[36:37], s[0:1], -1
	s_mul_i32 s0, s6, s35
	s_mul_hi_u32 s1, s6, s34
	s_add_i32 s23, s1, s0
	s_mul_i32 s0, s34, s35
	s_mul_hi_u32 s1, s34, s34
	s_add_i32 s1, s1, s0
	s_add_i32 s33, s1, s0
	v_cmp_gt_i64_e64 s[0:1], s[26:27], v[6:7]
	s_cmp_lg_u32 s39, 0
	s_mul_i32 s29, s6, s34
	s_cselect_b64 s[6:7], -1, 0
	s_and_b64 s[26:27], s[2:3], s[0:1]
	v_mad_u64_u32 v[8:9], s[2:3], v6, s10, 0
	v_mov_b32_e32 v14, s9
	v_add_co_u32_e32 v24, vcc, s8, v4
	v_mov_b32_e32 v12, v9
	v_addc_co_u32_e32 v25, vcc, v14, v5, vcc
	v_mad_u64_u32 v[12:13], s[2:3], v6, s11, v[12:13]
	v_mov_b32_e32 v15, s13
	v_add_co_u32_e32 v4, vcc, s12, v6
	v_mov_b32_e32 v9, v12
	v_addc_co_u32_e32 v5, vcc, 0, v15, vcc
	v_lshlrev_b64 v[8:9], 2, v[8:9]
	v_and_b32_e32 v0, 0x3ff, v0
	v_mov_b32_e32 v1, v7
	v_add_co_u32_e32 v28, vcc, s8, v8
	v_lshlrev_b32_e32 v3, 5, v2
	v_addc_co_u32_e32 v29, vcc, v14, v9, vcc
	v_mad_u64_u32 v[8:9], s[2:3], v6, s14, v[0:1]
	v_add_lshl_u32 v26, v3, v0, 2
	v_mov_b32_e32 v3, v7
	v_mov_b32_e32 v7, 0x1000
	;; [unrolled: 1-line block ×3, first 2 shown]
	v_lshl_add_u32 v31, v2, 7, v7
	v_mad_u64_u32 v[6:7], s[2:3], v6, s15, v[12:13]
	s_cmp_lg_u32 s20, 1
	v_mov_b32_e32 v7, v6
	v_add_co_u32_e32 v6, vcc, s12, v8
	s_mul_i32 s2, s25, s34
	s_mul_i32 s3, s24, s35
	v_mov_b32_e32 v8, s34
	s_mov_b32 s53, s21
	s_cselect_b64 s[20:21], -1, 0
	s_add_i32 s4, s3, s2
	v_mad_u64_u32 v[8:9], s[2:3], s24, v8, v[0:1]
	v_add_u32_e32 v1, s4, v9
	v_addc_co_u32_e32 v7, vcc, v15, v7, vcc
	v_mul_lo_u32 v1, s34, v1
	v_mad_u64_u32 v[12:13], s[2:3], s34, v8, v[2:3]
	v_mul_lo_u32 v3, s35, v8
	v_pk_mov_b32 v[10:11], s[30:31], s[30:31] op_sel:[0,1]
	v_add3_u32 v1, v3, v13, v1
	v_mov_b32_e32 v3, s19
	v_add_co_u32_e32 v8, vcc, s18, v12
	s_mul_i32 s52, s34, s34
	v_add_u32_e32 v27, 0x1000, v26
	v_cmp_neq_f32_e64 s[38:39], s28, 0
	v_lshlrev_b32_e32 v30, 2, v0
	v_addc_co_u32_e32 v9, vcc, v3, v1, vcc
	s_lshl_b64 s[8:9], s[34:35], 5
	s_mov_b64 s[12:13], 0
	v_cmp_lt_i64_e64 s[2:3], s[24:25], v[10:11]
	s_branch .LBB20_12
.LBB20_11:                              ;   in Loop: Header=BB20_12 Depth=1
	s_or_b64 exec, exec, s[4:5]
	s_add_u32 s12, s12, 32
	v_mov_b32_e32 v1, s9
	v_add_co_u32_e32 v8, vcc, s8, v8
	s_addc_u32 s13, s13, 0
	v_addc_co_u32_e32 v9, vcc, v9, v1, vcc
	v_pk_mov_b32 v[10:11], s[34:35], s[34:35] op_sel:[0,1]
	v_cmp_lt_i64_e32 vcc, s[12:13], v[10:11]
	s_cbranch_vccz .LBB20_57
.LBB20_12:                              ; =>This Loop Header: Depth=1
                                        ;     Child Loop BB20_15 Depth 2
                                        ;       Child Loop BB20_17 Depth 3
	v_mov_b32_e32 v1, s13
	v_add_co_u32_e32 v10, vcc, s12, v0
	v_addc_co_u32_e32 v11, vcc, 0, v1, vcc
	s_andn2_b64 vcc, exec, s[2:3]
	v_cmp_gt_i64_e64 s[4:5], s[34:35], v[10:11]
	v_mov_b32_e32 v1, 0
	s_cbranch_vccnz .LBB20_45
; %bb.13:                               ;   in Loop: Header=BB20_12 Depth=1
	v_mov_b32_e32 v1, s19
	v_add_co_u32_e32 v12, vcc, s18, v10
	v_addc_co_u32_e32 v13, vcc, v1, v11, vcc
	v_mov_b32_e32 v1, 0
	v_pk_mov_b32 v[14:15], v[8:9], v[8:9] op_sel:[0,1]
	s_mov_b64 s[40:41], s[24:25]
	s_branch .LBB20_15
.LBB20_14:                              ;   in Loop: Header=BB20_15 Depth=2
	s_add_u32 s40, s40, 1
	v_mov_b32_e32 v3, s33
	v_add_co_u32_e32 v14, vcc, s52, v14
	s_addc_u32 s41, s41, 0
	v_addc_co_u32_e32 v15, vcc, v15, v3, vcc
	v_pk_mov_b32 v[16:17], s[30:31], s[30:31] op_sel:[0,1]
	v_cmp_ge_i64_e32 vcc, s[40:41], v[16:17]
	s_cbranch_vccnz .LBB20_45
.LBB20_15:                              ;   Parent Loop BB20_12 Depth=1
                                        ; =>  This Loop Header: Depth=2
                                        ;       Child Loop BB20_17 Depth 3
	s_lshl_b64 s[42:43], s[40:41], 3
	s_add_u32 s42, s16, s42
	s_addc_u32 s43, s17, s43
	s_load_dwordx2 s[42:43], s[42:43], 0x0
	s_mul_i32 s44, s33, s40
	v_mov_b32_e32 v3, s40
	s_waitcnt lgkmcnt(0)
	s_sub_u32 s45, s42, s53
	s_subb_u32 s42, s43, 0
	s_mul_i32 s46, s45, s35
	s_mul_i32 s42, s42, s34
	s_mul_hi_u32 s43, s45, s34
	s_add_i32 s46, s46, s42
	s_mul_i32 s42, s52, s41
	s_add_i32 s55, s46, s43
	s_add_i32 s44, s42, s44
	v_mad_u64_u32 v[16:17], s[42:43], s52, v3, v[12:13]
	v_mov_b32_e32 v3, s34
	v_mad_u64_u32 v[18:19], s[42:43], s45, v3, v[6:7]
	s_mul_i32 s54, s45, s34
	v_add_u32_e32 v17, s44, v17
	v_add_u32_e32 v19, s46, v19
	s_mov_b64 s[42:43], 0
	s_branch .LBB20_17
.LBB20_16:                              ;   in Loop: Header=BB20_17 Depth=3
	s_or_b64 exec, exec, s[46:47]
	ds_write_b32 v26, v3
	s_waitcnt lgkmcnt(0)
	s_barrier
	ds_read2_b32 v[44:45], v30 offset1:32
	ds_read_b128 v[20:23], v31
	ds_read_b128 v[32:35], v31 offset:16
	ds_read2_b32 v[46:47], v30 offset0:64 offset1:96
	ds_read_b128 v[36:39], v31 offset:32
	ds_read_b128 v[40:43], v31 offset:48
	ds_read2_b32 v[48:49], v30 offset0:128 offset1:160
	s_waitcnt lgkmcnt(5)
	v_fmac_f32_e32 v1, v44, v20
	v_fmac_f32_e32 v1, v45, v21
	ds_read2_b32 v[20:21], v30 offset0:192 offset1:224
	s_waitcnt lgkmcnt(4)
	v_fmac_f32_e32 v1, v46, v22
	v_fmac_f32_e32 v1, v47, v23
	s_waitcnt lgkmcnt(1)
	v_fmac_f32_e32 v1, v48, v32
	v_add_u32_e32 v3, 0x400, v30
	ds_read2_b32 v[22:23], v3 offset1:32
	v_fmac_f32_e32 v1, v49, v33
	s_waitcnt lgkmcnt(1)
	v_fmac_f32_e32 v1, v20, v34
	v_fmac_f32_e32 v1, v21, v35
	ds_read2_b32 v[20:21], v3 offset0:64 offset1:96
	ds_read2_b32 v[32:33], v3 offset0:128 offset1:160
	s_waitcnt lgkmcnt(2)
	v_fmac_f32_e32 v1, v22, v36
	v_fmac_f32_e32 v1, v23, v37
	ds_read2_b32 v[34:35], v3 offset0:192 offset1:224
	s_waitcnt lgkmcnt(2)
	v_fmac_f32_e32 v1, v20, v38
	v_add_u32_e32 v3, 0x800, v30
	v_fmac_f32_e32 v1, v21, v39
	ds_read2_b32 v[36:37], v3 offset1:32
	ds_read_b128 v[20:23], v31 offset:64
	s_waitcnt lgkmcnt(3)
	v_fmac_f32_e32 v1, v32, v40
	v_fmac_f32_e32 v1, v33, v41
	s_waitcnt lgkmcnt(2)
	v_fmac_f32_e32 v1, v34, v42
	v_fmac_f32_e32 v1, v35, v43
	ds_read2_b32 v[38:39], v3 offset0:64 offset1:96
	ds_read2_b32 v[40:41], v3 offset0:128 offset1:160
	ds_read_b128 v[32:35], v31 offset:80
	s_waitcnt lgkmcnt(3)
	v_fmac_f32_e32 v1, v36, v20
	v_fmac_f32_e32 v1, v37, v21
	ds_read2_b32 v[36:37], v3 offset0:192 offset1:224
	s_waitcnt lgkmcnt(3)
	v_fmac_f32_e32 v1, v38, v22
	v_fmac_f32_e32 v1, v39, v23
	v_add_u32_e32 v3, 0xc00, v30
	s_waitcnt lgkmcnt(1)
	v_fmac_f32_e32 v1, v40, v32
	ds_read2_b32 v[38:39], v3 offset1:32
	ds_read_b128 v[20:23], v31 offset:96
	v_fmac_f32_e32 v1, v41, v33
	s_waitcnt lgkmcnt(2)
	v_fmac_f32_e32 v1, v36, v34
	v_fmac_f32_e32 v1, v37, v35
	ds_read2_b32 v[36:37], v3 offset0:64 offset1:96
	ds_read_b128 v[32:35], v31 offset:112
	ds_read2_b32 v[40:41], v3 offset0:128 offset1:160
	s_waitcnt lgkmcnt(3)
	v_fmac_f32_e32 v1, v38, v20
	v_fmac_f32_e32 v1, v39, v21
	ds_read2_b32 v[20:21], v3 offset0:192 offset1:224
	s_waitcnt lgkmcnt(3)
	v_fmac_f32_e32 v1, v36, v22
	v_fmac_f32_e32 v1, v37, v23
	s_waitcnt lgkmcnt(1)
	v_fmac_f32_e32 v1, v40, v32
	v_fmac_f32_e32 v1, v41, v33
	s_waitcnt lgkmcnt(0)
	v_fmac_f32_e32 v1, v20, v34
	s_add_u32 s42, s42, 32
	v_fmac_f32_e32 v1, v21, v35
	s_addc_u32 s43, s43, 0
	v_pk_mov_b32 v[20:21], s[34:35], s[34:35] op_sel:[0,1]
	v_cmp_ge_i64_e32 vcc, s[42:43], v[20:21]
	s_barrier
	s_cbranch_vccnz .LBB20_14
.LBB20_17:                              ;   Parent Loop BB20_12 Depth=1
                                        ;     Parent Loop BB20_15 Depth=2
                                        ; =>    This Inner Loop Header: Depth=3
	s_and_b64 vcc, exec, s[36:37]
	s_cbranch_vccz .LBB20_23
; %bb.18:                               ;   in Loop: Header=BB20_17 Depth=3
	s_mov_b64 s[46:47], 0
	s_mov_b64 s[44:45], 0
                                        ; implicit-def: $vgpr20_vgpr21
	s_and_saveexec_b64 s[48:49], s[0:1]
	s_cbranch_execz .LBB20_22
; %bb.19:                               ;   in Loop: Header=BB20_17 Depth=3
	v_mov_b32_e32 v3, s43
	v_add_co_u32_e32 v22, vcc, s42, v0
	v_addc_co_u32_e32 v23, vcc, 0, v3, vcc
	v_cmp_gt_i64_e32 vcc, s[34:35], v[22:23]
                                        ; implicit-def: $vgpr20_vgpr21
	s_and_saveexec_b64 s[50:51], vcc
	s_xor_b64 s[50:51], exec, s[50:51]
; %bb.20:                               ;   in Loop: Header=BB20_17 Depth=3
	v_mov_b32_e32 v3, s55
	v_add_co_u32_e32 v20, vcc, s54, v22
	v_addc_co_u32_e32 v3, vcc, v23, v3, vcc
	v_mul_lo_u32 v22, v20, s15
	v_mul_lo_u32 v3, v3, s14
	v_mad_u64_u32 v[20:21], s[56:57], v20, s14, v[4:5]
	s_mov_b64 s[44:45], exec
	v_add3_u32 v21, v3, v21, v22
; %bb.21:                               ;   in Loop: Header=BB20_17 Depth=3
	s_or_b64 exec, exec, s[50:51]
	s_and_b64 s[44:45], s[44:45], exec
.LBB20_22:                              ;   in Loop: Header=BB20_17 Depth=3
	s_or_b64 exec, exec, s[48:49]
	s_mov_b32 s48, 0
	s_and_b64 vcc, exec, s[46:47]
	s_cbranch_vccnz .LBB20_24
	s_branch .LBB20_29
.LBB20_23:                              ;   in Loop: Header=BB20_17 Depth=3
	s_mov_b64 s[44:45], 0
                                        ; implicit-def: $vgpr20_vgpr21
                                        ; implicit-def: $sgpr48
	s_cbranch_execz .LBB20_29
.LBB20_24:                              ;   in Loop: Header=BB20_17 Depth=3
                                        ; implicit-def: $vgpr20_vgpr21
	s_and_saveexec_b64 s[46:47], s[0:1]
	s_cbranch_execz .LBB20_28
; %bb.25:                               ;   in Loop: Header=BB20_17 Depth=3
	v_mov_b32_e32 v3, s43
	v_add_co_u32_e32 v20, vcc, s42, v0
	v_addc_co_u32_e32 v21, vcc, 0, v3, vcc
	v_cmp_gt_i64_e32 vcc, s[34:35], v[20:21]
	s_mov_b64 s[50:51], s[44:45]
                                        ; implicit-def: $vgpr20_vgpr21
	s_and_saveexec_b64 s[48:49], vcc
; %bb.26:                               ;   in Loop: Header=BB20_17 Depth=3
	v_mov_b32_e32 v3, s43
	v_add_co_u32_e32 v20, vcc, s42, v18
	v_addc_co_u32_e32 v21, vcc, v19, v3, vcc
	s_or_b64 s[50:51], s[44:45], exec
; %bb.27:                               ;   in Loop: Header=BB20_17 Depth=3
	s_or_b64 exec, exec, s[48:49]
	s_andn2_b64 s[44:45], s[44:45], exec
	s_and_b64 s[48:49], s[50:51], exec
	s_or_b64 s[44:45], s[44:45], s[48:49]
.LBB20_28:                              ;   in Loop: Header=BB20_17 Depth=3
	s_or_b64 exec, exec, s[46:47]
	s_mov_b32 s48, 0
.LBB20_29:                              ;   in Loop: Header=BB20_17 Depth=3
	v_mov_b32_e32 v3, s48
	s_and_saveexec_b64 s[46:47], s[44:45]
	s_cbranch_execnz .LBB20_37
; %bb.30:                               ;   in Loop: Header=BB20_17 Depth=3
	s_or_b64 exec, exec, s[46:47]
	s_and_b64 vcc, exec, s[6:7]
	ds_write_b32 v27, v3
	s_cbranch_vccz .LBB20_38
.LBB20_31:                              ;   in Loop: Header=BB20_17 Depth=3
	s_mov_b64 s[46:47], 0
	s_mov_b64 s[44:45], 0
                                        ; implicit-def: $vgpr20_vgpr21
	s_and_saveexec_b64 s[48:49], s[4:5]
	s_cbranch_execz .LBB20_35
; %bb.32:                               ;   in Loop: Header=BB20_17 Depth=3
	v_mov_b32_e32 v3, s43
	v_add_co_u32_e32 v22, vcc, s42, v2
	v_addc_co_u32_e32 v23, vcc, 0, v3, vcc
	v_cmp_gt_i64_e32 vcc, s[34:35], v[22:23]
                                        ; implicit-def: $vgpr20_vgpr21
	s_and_saveexec_b64 s[50:51], vcc
	s_xor_b64 s[50:51], exec, s[50:51]
; %bb.33:                               ;   in Loop: Header=BB20_17 Depth=3
	v_mad_u64_u32 v[20:21], s[56:57], v22, s34, v[16:17]
	v_mul_lo_u32 v3, v22, s35
	v_mul_lo_u32 v22, v23, s34
	s_mov_b64 s[44:45], exec
	v_add3_u32 v21, v22, v21, v3
; %bb.34:                               ;   in Loop: Header=BB20_17 Depth=3
	s_or_b64 exec, exec, s[50:51]
	s_and_b64 s[44:45], s[44:45], exec
.LBB20_35:                              ;   in Loop: Header=BB20_17 Depth=3
	s_or_b64 exec, exec, s[48:49]
	s_mov_b32 s48, 0
	s_and_b64 vcc, exec, s[46:47]
	s_cbranch_vccnz .LBB20_39
.LBB20_36:                              ;   in Loop: Header=BB20_17 Depth=3
	v_mov_b32_e32 v3, s48
	s_and_saveexec_b64 s[46:47], s[44:45]
	s_cbranch_execz .LBB20_16
	s_branch .LBB20_44
.LBB20_37:                              ;   in Loop: Header=BB20_17 Depth=3
	global_load_sbyte v3, v[20:21], off
	s_waitcnt vmcnt(0)
	v_cvt_f32_i32_e32 v3, v3
	s_or_b64 exec, exec, s[46:47]
	s_and_b64 vcc, exec, s[6:7]
	ds_write_b32 v27, v3
	s_cbranch_vccnz .LBB20_31
.LBB20_38:                              ;   in Loop: Header=BB20_17 Depth=3
	s_mov_b64 s[44:45], 0
                                        ; implicit-def: $vgpr20_vgpr21
                                        ; implicit-def: $sgpr48
	s_cbranch_execz .LBB20_36
.LBB20_39:                              ;   in Loop: Header=BB20_17 Depth=3
                                        ; implicit-def: $vgpr20_vgpr21
	s_and_saveexec_b64 s[46:47], s[4:5]
	s_cbranch_execz .LBB20_43
; %bb.40:                               ;   in Loop: Header=BB20_17 Depth=3
	v_mov_b32_e32 v3, s43
	v_add_co_u32_e32 v20, vcc, s42, v2
	v_addc_co_u32_e32 v21, vcc, 0, v3, vcc
	v_cmp_gt_i64_e32 vcc, s[34:35], v[20:21]
	s_mov_b64 s[50:51], s[44:45]
                                        ; implicit-def: $vgpr20_vgpr21
	s_and_saveexec_b64 s[48:49], vcc
; %bb.41:                               ;   in Loop: Header=BB20_17 Depth=3
	v_mov_b32_e32 v3, s43
	v_add_co_u32_e32 v20, vcc, s42, v14
	v_addc_co_u32_e32 v21, vcc, v15, v3, vcc
	s_or_b64 s[50:51], s[44:45], exec
; %bb.42:                               ;   in Loop: Header=BB20_17 Depth=3
	s_or_b64 exec, exec, s[48:49]
	s_andn2_b64 s[44:45], s[44:45], exec
	s_and_b64 s[48:49], s[50:51], exec
	s_or_b64 s[44:45], s[44:45], s[48:49]
.LBB20_43:                              ;   in Loop: Header=BB20_17 Depth=3
	s_or_b64 exec, exec, s[46:47]
	s_mov_b32 s48, 0
	v_mov_b32_e32 v3, s48
	s_and_saveexec_b64 s[46:47], s[44:45]
	s_cbranch_execz .LBB20_16
.LBB20_44:                              ;   in Loop: Header=BB20_17 Depth=3
	global_load_sbyte v3, v[20:21], off
	s_waitcnt vmcnt(0)
	v_cvt_f32_i32_e32 v3, v3
	s_branch .LBB20_16
.LBB20_45:                              ;   in Loop: Header=BB20_12 Depth=1
	v_cmp_gt_i64_e32 vcc, s[34:35], v[10:11]
	s_and_b64 s[40:41], s[26:27], vcc
	s_and_saveexec_b64 s[4:5], s[40:41]
	s_cbranch_execz .LBB20_11
; %bb.46:                               ;   in Loop: Header=BB20_12 Depth=1
	v_mov_b32_e32 v3, s23
	v_add_co_u32_e32 v10, vcc, s29, v10
	v_addc_co_u32_e32 v11, vcc, v11, v3, vcc
	s_mov_b64 s[40:41], -1
	s_and_b64 vcc, exec, s[38:39]
	s_cbranch_vccz .LBB20_52
; %bb.47:                               ;   in Loop: Header=BB20_12 Depth=1
	s_and_b64 vcc, exec, s[20:21]
	s_cbranch_vccz .LBB20_49
; %bb.48:                               ;   in Loop: Header=BB20_12 Depth=1
	v_mul_lo_u32 v3, v11, s10
	v_mul_lo_u32 v14, v10, s11
	v_mad_u64_u32 v[12:13], s[40:41], v10, s10, 0
	v_add3_u32 v13, v13, v14, v3
	v_lshlrev_b64 v[12:13], 2, v[12:13]
	v_add_co_u32_e32 v12, vcc, v24, v12
	v_addc_co_u32_e32 v13, vcc, v25, v13, vcc
	global_load_dword v3, v[12:13], off
	v_mul_f32_e32 v14, s22, v1
	s_mov_b64 s[40:41], 0
	s_waitcnt vmcnt(0)
	v_fmac_f32_e32 v14, s28, v3
	global_store_dword v[12:13], v14, off
.LBB20_49:                              ;   in Loop: Header=BB20_12 Depth=1
	s_andn2_b64 vcc, exec, s[40:41]
	s_cbranch_vccnz .LBB20_51
; %bb.50:                               ;   in Loop: Header=BB20_12 Depth=1
	v_lshlrev_b64 v[12:13], 2, v[10:11]
	v_add_co_u32_e32 v12, vcc, v28, v12
	v_addc_co_u32_e32 v13, vcc, v29, v13, vcc
	global_load_dword v3, v[12:13], off
	v_mul_f32_e32 v14, s22, v1
	s_waitcnt vmcnt(0)
	v_fmac_f32_e32 v14, s28, v3
	global_store_dword v[12:13], v14, off
.LBB20_51:                              ;   in Loop: Header=BB20_12 Depth=1
	s_mov_b64 s[40:41], 0
.LBB20_52:                              ;   in Loop: Header=BB20_12 Depth=1
	s_andn2_b64 vcc, exec, s[40:41]
	s_cbranch_vccnz .LBB20_11
; %bb.53:                               ;   in Loop: Header=BB20_12 Depth=1
	v_mul_f32_e32 v1, s22, v1
	s_mov_b64 s[40:41], -1
	s_and_b64 vcc, exec, s[20:21]
	s_cbranch_vccz .LBB20_55
; %bb.54:                               ;   in Loop: Header=BB20_12 Depth=1
	v_mul_lo_u32 v3, v11, s10
	v_mul_lo_u32 v14, v10, s11
	v_mad_u64_u32 v[12:13], s[40:41], v10, s10, 0
	v_add3_u32 v13, v13, v14, v3
	v_lshlrev_b64 v[12:13], 2, v[12:13]
	v_add_co_u32_e32 v12, vcc, v24, v12
	v_addc_co_u32_e32 v13, vcc, v25, v13, vcc
	global_store_dword v[12:13], v1, off
	s_mov_b64 s[40:41], 0
.LBB20_55:                              ;   in Loop: Header=BB20_12 Depth=1
	s_andn2_b64 vcc, exec, s[40:41]
	s_cbranch_vccnz .LBB20_11
; %bb.56:                               ;   in Loop: Header=BB20_12 Depth=1
	v_lshlrev_b64 v[10:11], 2, v[10:11]
	v_add_co_u32_e32 v10, vcc, v28, v10
	v_addc_co_u32_e32 v11, vcc, v29, v11, vcc
	global_store_dword v[10:11], v1, off
	s_branch .LBB20_11
.LBB20_57:
	s_endpgm
	.section	.rodata,"a",@progbits
	.p2align	6, 0x0
	.amdhsa_kernel _ZN9rocsparseL29bsrmm_general_blockdim_kernelILj32ELj32EllaaffEEvb20rocsparse_direction_T2_S2_llNS_24const_host_device_scalarIT6_EEPKT1_PKS2_PKT3_S2_PKT4_llS5_PT5_ll16rocsparse_order_21rocsparse_index_base_b
		.amdhsa_group_segment_fixed_size 8192
		.amdhsa_private_segment_fixed_size 0
		.amdhsa_kernarg_size 148
		.amdhsa_user_sgpr_count 6
		.amdhsa_user_sgpr_private_segment_buffer 1
		.amdhsa_user_sgpr_dispatch_ptr 0
		.amdhsa_user_sgpr_queue_ptr 0
		.amdhsa_user_sgpr_kernarg_segment_ptr 1
		.amdhsa_user_sgpr_dispatch_id 0
		.amdhsa_user_sgpr_flat_scratch_init 0
		.amdhsa_user_sgpr_kernarg_preload_length 0
		.amdhsa_user_sgpr_kernarg_preload_offset 0
		.amdhsa_user_sgpr_private_segment_size 0
		.amdhsa_uses_dynamic_stack 0
		.amdhsa_system_sgpr_private_segment_wavefront_offset 0
		.amdhsa_system_sgpr_workgroup_id_x 1
		.amdhsa_system_sgpr_workgroup_id_y 1
		.amdhsa_system_sgpr_workgroup_id_z 0
		.amdhsa_system_sgpr_workgroup_info 0
		.amdhsa_system_vgpr_workitem_id 1
		.amdhsa_next_free_vgpr 50
		.amdhsa_next_free_sgpr 58
		.amdhsa_accum_offset 52
		.amdhsa_reserve_vcc 1
		.amdhsa_reserve_flat_scratch 0
		.amdhsa_float_round_mode_32 0
		.amdhsa_float_round_mode_16_64 0
		.amdhsa_float_denorm_mode_32 3
		.amdhsa_float_denorm_mode_16_64 3
		.amdhsa_dx10_clamp 1
		.amdhsa_ieee_mode 1
		.amdhsa_fp16_overflow 0
		.amdhsa_tg_split 0
		.amdhsa_exception_fp_ieee_invalid_op 0
		.amdhsa_exception_fp_denorm_src 0
		.amdhsa_exception_fp_ieee_div_zero 0
		.amdhsa_exception_fp_ieee_overflow 0
		.amdhsa_exception_fp_ieee_underflow 0
		.amdhsa_exception_fp_ieee_inexact 0
		.amdhsa_exception_int_div_zero 0
	.end_amdhsa_kernel
	.section	.text._ZN9rocsparseL29bsrmm_general_blockdim_kernelILj32ELj32EllaaffEEvb20rocsparse_direction_T2_S2_llNS_24const_host_device_scalarIT6_EEPKT1_PKS2_PKT3_S2_PKT4_llS5_PT5_ll16rocsparse_order_21rocsparse_index_base_b,"axG",@progbits,_ZN9rocsparseL29bsrmm_general_blockdim_kernelILj32ELj32EllaaffEEvb20rocsparse_direction_T2_S2_llNS_24const_host_device_scalarIT6_EEPKT1_PKS2_PKT3_S2_PKT4_llS5_PT5_ll16rocsparse_order_21rocsparse_index_base_b,comdat
.Lfunc_end20:
	.size	_ZN9rocsparseL29bsrmm_general_blockdim_kernelILj32ELj32EllaaffEEvb20rocsparse_direction_T2_S2_llNS_24const_host_device_scalarIT6_EEPKT1_PKS2_PKT3_S2_PKT4_llS5_PT5_ll16rocsparse_order_21rocsparse_index_base_b, .Lfunc_end20-_ZN9rocsparseL29bsrmm_general_blockdim_kernelILj32ELj32EllaaffEEvb20rocsparse_direction_T2_S2_llNS_24const_host_device_scalarIT6_EEPKT1_PKS2_PKT3_S2_PKT4_llS5_PT5_ll16rocsparse_order_21rocsparse_index_base_b
                                        ; -- End function
	.section	.AMDGPU.csdata,"",@progbits
; Kernel info:
; codeLenInByte = 2228
; NumSgprs: 62
; NumVgprs: 50
; NumAgprs: 0
; TotalNumVgprs: 50
; ScratchSize: 0
; MemoryBound: 0
; FloatMode: 240
; IeeeMode: 1
; LDSByteSize: 8192 bytes/workgroup (compile time only)
; SGPRBlocks: 7
; VGPRBlocks: 6
; NumSGPRsForWavesPerEU: 62
; NumVGPRsForWavesPerEU: 50
; AccumOffset: 52
; Occupancy: 8
; WaveLimiterHint : 1
; COMPUTE_PGM_RSRC2:SCRATCH_EN: 0
; COMPUTE_PGM_RSRC2:USER_SGPR: 6
; COMPUTE_PGM_RSRC2:TRAP_HANDLER: 0
; COMPUTE_PGM_RSRC2:TGID_X_EN: 1
; COMPUTE_PGM_RSRC2:TGID_Y_EN: 1
; COMPUTE_PGM_RSRC2:TGID_Z_EN: 0
; COMPUTE_PGM_RSRC2:TIDIG_COMP_CNT: 1
; COMPUTE_PGM_RSRC3_GFX90A:ACCUM_OFFSET: 12
; COMPUTE_PGM_RSRC3_GFX90A:TG_SPLIT: 0
	.text
	.p2alignl 6, 3212836864
	.fill 256, 4, 3212836864
	.type	__hip_cuid_e8ef170de0d841c,@object ; @__hip_cuid_e8ef170de0d841c
	.section	.bss,"aw",@nobits
	.globl	__hip_cuid_e8ef170de0d841c
__hip_cuid_e8ef170de0d841c:
	.byte	0                               ; 0x0
	.size	__hip_cuid_e8ef170de0d841c, 1

	.ident	"AMD clang version 19.0.0git (https://github.com/RadeonOpenCompute/llvm-project roc-6.4.0 25133 c7fe45cf4b819c5991fe208aaa96edf142730f1d)"
	.section	".note.GNU-stack","",@progbits
	.addrsig
	.addrsig_sym __hip_cuid_e8ef170de0d841c
	.amdgpu_metadata
---
amdhsa.kernels:
  - .agpr_count:     0
    .args:
      - .offset:         0
        .size:           1
        .value_kind:     by_value
      - .offset:         4
        .size:           4
        .value_kind:     by_value
      - .offset:         8
        .size:           4
        .value_kind:     by_value
      - .offset:         12
        .size:           4
        .value_kind:     by_value
      - .offset:         16
        .size:           8
        .value_kind:     by_value
      - .offset:         24
        .size:           8
        .value_kind:     by_value
      - .offset:         32
        .size:           8
        .value_kind:     by_value
      - .actual_access:  read_only
        .address_space:  global
        .offset:         40
        .size:           8
        .value_kind:     global_buffer
      - .actual_access:  read_only
        .address_space:  global
        .offset:         48
        .size:           8
        .value_kind:     global_buffer
      - .actual_access:  read_only
        .address_space:  global
        .offset:         56
        .size:           8
        .value_kind:     global_buffer
      - .offset:         64
        .size:           4
        .value_kind:     by_value
      - .actual_access:  read_only
        .address_space:  global
        .offset:         72
        .size:           8
        .value_kind:     global_buffer
      - .offset:         80
        .size:           8
        .value_kind:     by_value
      - .offset:         88
        .size:           8
        .value_kind:     by_value
      - .offset:         96
        .size:           8
        .value_kind:     by_value
      - .address_space:  global
        .offset:         104
        .size:           8
        .value_kind:     global_buffer
      - .offset:         112
        .size:           8
        .value_kind:     by_value
      - .offset:         120
        .size:           8
        .value_kind:     by_value
      - .offset:         128
        .size:           4
        .value_kind:     by_value
      - .offset:         132
        .size:           4
        .value_kind:     by_value
      - .offset:         136
        .size:           1
        .value_kind:     by_value
    .group_segment_fixed_size: 8192
    .kernarg_segment_align: 8
    .kernarg_segment_size: 140
    .language:       OpenCL C
    .language_version:
      - 2
      - 0
    .max_flat_workgroup_size: 1024
    .name:           _ZN9rocsparseL29bsrmm_general_blockdim_kernelILj32ELj32EiiffffEEvb20rocsparse_direction_T2_S2_llNS_24const_host_device_scalarIT6_EEPKT1_PKS2_PKT3_S2_PKT4_llS5_PT5_ll16rocsparse_order_21rocsparse_index_base_b
    .private_segment_fixed_size: 0
    .sgpr_count:     52
    .sgpr_spill_count: 0
    .symbol:         _ZN9rocsparseL29bsrmm_general_blockdim_kernelILj32ELj32EiiffffEEvb20rocsparse_direction_T2_S2_llNS_24const_host_device_scalarIT6_EEPKT1_PKS2_PKT3_S2_PKT4_llS5_PT5_ll16rocsparse_order_21rocsparse_index_base_b.kd
    .uniform_work_group_size: 1
    .uses_dynamic_stack: false
    .vgpr_count:     42
    .vgpr_spill_count: 0
    .wavefront_size: 64
  - .agpr_count:     0
    .args:
      - .offset:         0
        .size:           1
        .value_kind:     by_value
      - .offset:         4
        .size:           4
        .value_kind:     by_value
      - .offset:         8
        .size:           4
        .value_kind:     by_value
      - .offset:         12
        .size:           4
        .value_kind:     by_value
      - .offset:         16
        .size:           8
        .value_kind:     by_value
      - .offset:         24
        .size:           8
        .value_kind:     by_value
      - .offset:         32
        .size:           8
        .value_kind:     by_value
      - .actual_access:  read_only
        .address_space:  global
        .offset:         40
        .size:           8
        .value_kind:     global_buffer
      - .actual_access:  read_only
        .address_space:  global
        .offset:         48
        .size:           8
        .value_kind:     global_buffer
      - .actual_access:  read_only
        .address_space:  global
        .offset:         56
        .size:           8
        .value_kind:     global_buffer
      - .offset:         64
        .size:           4
        .value_kind:     by_value
      - .actual_access:  read_only
        .address_space:  global
        .offset:         72
        .size:           8
        .value_kind:     global_buffer
      - .offset:         80
        .size:           8
        .value_kind:     by_value
      - .offset:         88
        .size:           8
        .value_kind:     by_value
      - .offset:         96
        .size:           8
        .value_kind:     by_value
      - .address_space:  global
        .offset:         104
        .size:           8
        .value_kind:     global_buffer
      - .offset:         112
        .size:           8
        .value_kind:     by_value
      - .offset:         120
        .size:           8
        .value_kind:     by_value
      - .offset:         128
        .size:           4
        .value_kind:     by_value
      - .offset:         132
        .size:           4
        .value_kind:     by_value
      - .offset:         136
        .size:           1
        .value_kind:     by_value
    .group_segment_fixed_size: 8192
    .kernarg_segment_align: 8
    .kernarg_segment_size: 140
    .language:       OpenCL C
    .language_version:
      - 2
      - 0
    .max_flat_workgroup_size: 1024
    .name:           _ZN9rocsparseL29bsrmm_general_blockdim_kernelILj32ELj32EliffffEEvb20rocsparse_direction_T2_S2_llNS_24const_host_device_scalarIT6_EEPKT1_PKS2_PKT3_S2_PKT4_llS5_PT5_ll16rocsparse_order_21rocsparse_index_base_b
    .private_segment_fixed_size: 0
    .sgpr_count:     56
    .sgpr_spill_count: 0
    .symbol:         _ZN9rocsparseL29bsrmm_general_blockdim_kernelILj32ELj32EliffffEEvb20rocsparse_direction_T2_S2_llNS_24const_host_device_scalarIT6_EEPKT1_PKS2_PKT3_S2_PKT4_llS5_PT5_ll16rocsparse_order_21rocsparse_index_base_b.kd
    .uniform_work_group_size: 1
    .uses_dynamic_stack: false
    .vgpr_count:     40
    .vgpr_spill_count: 0
    .wavefront_size: 64
  - .agpr_count:     0
    .args:
      - .offset:         0
        .size:           1
        .value_kind:     by_value
      - .offset:         4
        .size:           4
        .value_kind:     by_value
      - .offset:         8
        .size:           8
        .value_kind:     by_value
      - .offset:         16
        .size:           8
        .value_kind:     by_value
      - .offset:         24
        .size:           8
        .value_kind:     by_value
      - .offset:         32
        .size:           8
        .value_kind:     by_value
      - .offset:         40
        .size:           8
        .value_kind:     by_value
      - .actual_access:  read_only
        .address_space:  global
        .offset:         48
        .size:           8
        .value_kind:     global_buffer
      - .actual_access:  read_only
        .address_space:  global
        .offset:         56
        .size:           8
        .value_kind:     global_buffer
      - .actual_access:  read_only
        .address_space:  global
        .offset:         64
        .size:           8
        .value_kind:     global_buffer
      - .offset:         72
        .size:           8
        .value_kind:     by_value
      - .actual_access:  read_only
        .address_space:  global
        .offset:         80
        .size:           8
        .value_kind:     global_buffer
      - .offset:         88
        .size:           8
        .value_kind:     by_value
      - .offset:         96
        .size:           8
        .value_kind:     by_value
      - .offset:         104
        .size:           8
        .value_kind:     by_value
      - .address_space:  global
        .offset:         112
        .size:           8
        .value_kind:     global_buffer
      - .offset:         120
        .size:           8
        .value_kind:     by_value
      - .offset:         128
        .size:           8
        .value_kind:     by_value
      - .offset:         136
        .size:           4
        .value_kind:     by_value
      - .offset:         140
        .size:           4
        .value_kind:     by_value
      - .offset:         144
        .size:           1
        .value_kind:     by_value
    .group_segment_fixed_size: 8192
    .kernarg_segment_align: 8
    .kernarg_segment_size: 148
    .language:       OpenCL C
    .language_version:
      - 2
      - 0
    .max_flat_workgroup_size: 1024
    .name:           _ZN9rocsparseL29bsrmm_general_blockdim_kernelILj32ELj32EllffffEEvb20rocsparse_direction_T2_S2_llNS_24const_host_device_scalarIT6_EEPKT1_PKS2_PKT3_S2_PKT4_llS5_PT5_ll16rocsparse_order_21rocsparse_index_base_b
    .private_segment_fixed_size: 0
    .sgpr_count:     66
    .sgpr_spill_count: 0
    .symbol:         _ZN9rocsparseL29bsrmm_general_blockdim_kernelILj32ELj32EllffffEEvb20rocsparse_direction_T2_S2_llNS_24const_host_device_scalarIT6_EEPKT1_PKS2_PKT3_S2_PKT4_llS5_PT5_ll16rocsparse_order_21rocsparse_index_base_b.kd
    .uniform_work_group_size: 1
    .uses_dynamic_stack: false
    .vgpr_count:     52
    .vgpr_spill_count: 0
    .wavefront_size: 64
  - .agpr_count:     0
    .args:
      - .offset:         0
        .size:           1
        .value_kind:     by_value
      - .offset:         4
        .size:           4
        .value_kind:     by_value
      - .offset:         8
        .size:           4
        .value_kind:     by_value
      - .offset:         12
        .size:           4
        .value_kind:     by_value
      - .offset:         16
        .size:           8
        .value_kind:     by_value
      - .offset:         24
        .size:           8
        .value_kind:     by_value
      - .offset:         32
        .size:           8
        .value_kind:     by_value
      - .actual_access:  read_only
        .address_space:  global
        .offset:         40
        .size:           8
        .value_kind:     global_buffer
      - .actual_access:  read_only
        .address_space:  global
        .offset:         48
        .size:           8
        .value_kind:     global_buffer
      - .actual_access:  read_only
        .address_space:  global
        .offset:         56
        .size:           8
        .value_kind:     global_buffer
      - .offset:         64
        .size:           4
        .value_kind:     by_value
      - .actual_access:  read_only
        .address_space:  global
        .offset:         72
        .size:           8
        .value_kind:     global_buffer
      - .offset:         80
        .size:           8
        .value_kind:     by_value
      - .offset:         88
        .size:           8
        .value_kind:     by_value
      - .offset:         96
        .size:           8
        .value_kind:     by_value
      - .address_space:  global
        .offset:         104
        .size:           8
        .value_kind:     global_buffer
      - .offset:         112
        .size:           8
        .value_kind:     by_value
      - .offset:         120
        .size:           8
        .value_kind:     by_value
      - .offset:         128
        .size:           4
        .value_kind:     by_value
      - .offset:         132
        .size:           4
        .value_kind:     by_value
      - .offset:         136
        .size:           1
        .value_kind:     by_value
    .group_segment_fixed_size: 16384
    .kernarg_segment_align: 8
    .kernarg_segment_size: 140
    .language:       OpenCL C
    .language_version:
      - 2
      - 0
    .max_flat_workgroup_size: 1024
    .name:           _ZN9rocsparseL29bsrmm_general_blockdim_kernelILj32ELj32EiiddddEEvb20rocsparse_direction_T2_S2_llNS_24const_host_device_scalarIT6_EEPKT1_PKS2_PKT3_S2_PKT4_llS5_PT5_ll16rocsparse_order_21rocsparse_index_base_b
    .private_segment_fixed_size: 0
    .sgpr_count:     50
    .sgpr_spill_count: 0
    .symbol:         _ZN9rocsparseL29bsrmm_general_blockdim_kernelILj32ELj32EiiddddEEvb20rocsparse_direction_T2_S2_llNS_24const_host_device_scalarIT6_EEPKT1_PKS2_PKT3_S2_PKT4_llS5_PT5_ll16rocsparse_order_21rocsparse_index_base_b.kd
    .uniform_work_group_size: 1
    .uses_dynamic_stack: false
    .vgpr_count:     52
    .vgpr_spill_count: 0
    .wavefront_size: 64
  - .agpr_count:     0
    .args:
      - .offset:         0
        .size:           1
        .value_kind:     by_value
      - .offset:         4
        .size:           4
        .value_kind:     by_value
      - .offset:         8
        .size:           4
        .value_kind:     by_value
      - .offset:         12
        .size:           4
        .value_kind:     by_value
      - .offset:         16
        .size:           8
        .value_kind:     by_value
      - .offset:         24
        .size:           8
        .value_kind:     by_value
      - .offset:         32
        .size:           8
        .value_kind:     by_value
      - .actual_access:  read_only
        .address_space:  global
        .offset:         40
        .size:           8
        .value_kind:     global_buffer
      - .actual_access:  read_only
        .address_space:  global
        .offset:         48
        .size:           8
        .value_kind:     global_buffer
      - .actual_access:  read_only
        .address_space:  global
        .offset:         56
        .size:           8
        .value_kind:     global_buffer
      - .offset:         64
        .size:           4
        .value_kind:     by_value
      - .actual_access:  read_only
        .address_space:  global
        .offset:         72
        .size:           8
        .value_kind:     global_buffer
      - .offset:         80
        .size:           8
        .value_kind:     by_value
      - .offset:         88
        .size:           8
        .value_kind:     by_value
      - .offset:         96
        .size:           8
        .value_kind:     by_value
      - .address_space:  global
        .offset:         104
        .size:           8
        .value_kind:     global_buffer
      - .offset:         112
        .size:           8
        .value_kind:     by_value
      - .offset:         120
        .size:           8
        .value_kind:     by_value
      - .offset:         128
        .size:           4
        .value_kind:     by_value
      - .offset:         132
        .size:           4
        .value_kind:     by_value
      - .offset:         136
        .size:           1
        .value_kind:     by_value
    .group_segment_fixed_size: 16384
    .kernarg_segment_align: 8
    .kernarg_segment_size: 140
    .language:       OpenCL C
    .language_version:
      - 2
      - 0
    .max_flat_workgroup_size: 1024
    .name:           _ZN9rocsparseL29bsrmm_general_blockdim_kernelILj32ELj32EliddddEEvb20rocsparse_direction_T2_S2_llNS_24const_host_device_scalarIT6_EEPKT1_PKS2_PKT3_S2_PKT4_llS5_PT5_ll16rocsparse_order_21rocsparse_index_base_b
    .private_segment_fixed_size: 0
    .sgpr_count:     54
    .sgpr_spill_count: 0
    .symbol:         _ZN9rocsparseL29bsrmm_general_blockdim_kernelILj32ELj32EliddddEEvb20rocsparse_direction_T2_S2_llNS_24const_host_device_scalarIT6_EEPKT1_PKS2_PKT3_S2_PKT4_llS5_PT5_ll16rocsparse_order_21rocsparse_index_base_b.kd
    .uniform_work_group_size: 1
    .uses_dynamic_stack: false
    .vgpr_count:     54
    .vgpr_spill_count: 0
    .wavefront_size: 64
  - .agpr_count:     0
    .args:
      - .offset:         0
        .size:           1
        .value_kind:     by_value
      - .offset:         4
        .size:           4
        .value_kind:     by_value
      - .offset:         8
        .size:           8
        .value_kind:     by_value
      - .offset:         16
        .size:           8
        .value_kind:     by_value
      - .offset:         24
        .size:           8
        .value_kind:     by_value
      - .offset:         32
        .size:           8
        .value_kind:     by_value
      - .offset:         40
        .size:           8
        .value_kind:     by_value
      - .actual_access:  read_only
        .address_space:  global
        .offset:         48
        .size:           8
        .value_kind:     global_buffer
      - .actual_access:  read_only
        .address_space:  global
        .offset:         56
        .size:           8
        .value_kind:     global_buffer
      - .actual_access:  read_only
        .address_space:  global
        .offset:         64
        .size:           8
        .value_kind:     global_buffer
      - .offset:         72
        .size:           8
        .value_kind:     by_value
      - .actual_access:  read_only
        .address_space:  global
        .offset:         80
        .size:           8
        .value_kind:     global_buffer
      - .offset:         88
        .size:           8
        .value_kind:     by_value
      - .offset:         96
        .size:           8
        .value_kind:     by_value
      - .offset:         104
        .size:           8
        .value_kind:     by_value
      - .address_space:  global
        .offset:         112
        .size:           8
        .value_kind:     global_buffer
      - .offset:         120
        .size:           8
        .value_kind:     by_value
      - .offset:         128
        .size:           8
        .value_kind:     by_value
      - .offset:         136
        .size:           4
        .value_kind:     by_value
      - .offset:         140
        .size:           4
        .value_kind:     by_value
      - .offset:         144
        .size:           1
        .value_kind:     by_value
    .group_segment_fixed_size: 16384
    .kernarg_segment_align: 8
    .kernarg_segment_size: 148
    .language:       OpenCL C
    .language_version:
      - 2
      - 0
    .max_flat_workgroup_size: 1024
    .name:           _ZN9rocsparseL29bsrmm_general_blockdim_kernelILj32ELj32EllddddEEvb20rocsparse_direction_T2_S2_llNS_24const_host_device_scalarIT6_EEPKT1_PKS2_PKT3_S2_PKT4_llS5_PT5_ll16rocsparse_order_21rocsparse_index_base_b
    .private_segment_fixed_size: 0
    .sgpr_count:     64
    .sgpr_spill_count: 0
    .symbol:         _ZN9rocsparseL29bsrmm_general_blockdim_kernelILj32ELj32EllddddEEvb20rocsparse_direction_T2_S2_llNS_24const_host_device_scalarIT6_EEPKT1_PKS2_PKT3_S2_PKT4_llS5_PT5_ll16rocsparse_order_21rocsparse_index_base_b.kd
    .uniform_work_group_size: 1
    .uses_dynamic_stack: false
    .vgpr_count:     64
    .vgpr_spill_count: 0
    .wavefront_size: 64
  - .agpr_count:     0
    .args:
      - .offset:         0
        .size:           1
        .value_kind:     by_value
      - .offset:         4
        .size:           4
        .value_kind:     by_value
      - .offset:         8
        .size:           4
        .value_kind:     by_value
      - .offset:         12
        .size:           4
        .value_kind:     by_value
      - .offset:         16
        .size:           8
        .value_kind:     by_value
      - .offset:         24
        .size:           8
        .value_kind:     by_value
      - .offset:         32
        .size:           8
        .value_kind:     by_value
      - .actual_access:  read_only
        .address_space:  global
        .offset:         40
        .size:           8
        .value_kind:     global_buffer
      - .actual_access:  read_only
        .address_space:  global
        .offset:         48
        .size:           8
        .value_kind:     global_buffer
      - .actual_access:  read_only
        .address_space:  global
        .offset:         56
        .size:           8
        .value_kind:     global_buffer
      - .offset:         64
        .size:           4
        .value_kind:     by_value
      - .actual_access:  read_only
        .address_space:  global
        .offset:         72
        .size:           8
        .value_kind:     global_buffer
      - .offset:         80
        .size:           8
        .value_kind:     by_value
      - .offset:         88
        .size:           8
        .value_kind:     by_value
      - .offset:         96
        .size:           8
        .value_kind:     by_value
      - .address_space:  global
        .offset:         104
        .size:           8
        .value_kind:     global_buffer
      - .offset:         112
        .size:           8
        .value_kind:     by_value
      - .offset:         120
        .size:           8
        .value_kind:     by_value
      - .offset:         128
        .size:           4
        .value_kind:     by_value
      - .offset:         132
        .size:           4
        .value_kind:     by_value
      - .offset:         136
        .size:           1
        .value_kind:     by_value
    .group_segment_fixed_size: 16384
    .kernarg_segment_align: 8
    .kernarg_segment_size: 140
    .language:       OpenCL C
    .language_version:
      - 2
      - 0
    .max_flat_workgroup_size: 1024
    .name:           _ZN9rocsparseL29bsrmm_general_blockdim_kernelILj32ELj32Eii21rocsparse_complex_numIfES2_S2_S2_EEvb20rocsparse_direction_T2_S4_llNS_24const_host_device_scalarIT6_EEPKT1_PKS4_PKT3_S4_PKT4_llS7_PT5_ll16rocsparse_order_21rocsparse_index_base_b
    .private_segment_fixed_size: 0
    .sgpr_count:     52
    .sgpr_spill_count: 0
    .symbol:         _ZN9rocsparseL29bsrmm_general_blockdim_kernelILj32ELj32Eii21rocsparse_complex_numIfES2_S2_S2_EEvb20rocsparse_direction_T2_S4_llNS_24const_host_device_scalarIT6_EEPKT1_PKS4_PKT3_S4_PKT4_llS7_PT5_ll16rocsparse_order_21rocsparse_index_base_b.kd
    .uniform_work_group_size: 1
    .uses_dynamic_stack: false
    .vgpr_count:     52
    .vgpr_spill_count: 0
    .wavefront_size: 64
  - .agpr_count:     0
    .args:
      - .offset:         0
        .size:           1
        .value_kind:     by_value
      - .offset:         4
        .size:           4
        .value_kind:     by_value
      - .offset:         8
        .size:           4
        .value_kind:     by_value
      - .offset:         12
        .size:           4
        .value_kind:     by_value
      - .offset:         16
        .size:           8
        .value_kind:     by_value
      - .offset:         24
        .size:           8
        .value_kind:     by_value
      - .offset:         32
        .size:           8
        .value_kind:     by_value
      - .actual_access:  read_only
        .address_space:  global
        .offset:         40
        .size:           8
        .value_kind:     global_buffer
      - .actual_access:  read_only
        .address_space:  global
        .offset:         48
        .size:           8
        .value_kind:     global_buffer
      - .actual_access:  read_only
        .address_space:  global
        .offset:         56
        .size:           8
        .value_kind:     global_buffer
      - .offset:         64
        .size:           4
        .value_kind:     by_value
      - .actual_access:  read_only
        .address_space:  global
        .offset:         72
        .size:           8
        .value_kind:     global_buffer
      - .offset:         80
        .size:           8
        .value_kind:     by_value
      - .offset:         88
        .size:           8
        .value_kind:     by_value
      - .offset:         96
        .size:           8
        .value_kind:     by_value
      - .address_space:  global
        .offset:         104
        .size:           8
        .value_kind:     global_buffer
      - .offset:         112
        .size:           8
        .value_kind:     by_value
      - .offset:         120
        .size:           8
        .value_kind:     by_value
      - .offset:         128
        .size:           4
        .value_kind:     by_value
      - .offset:         132
        .size:           4
        .value_kind:     by_value
      - .offset:         136
        .size:           1
        .value_kind:     by_value
    .group_segment_fixed_size: 16384
    .kernarg_segment_align: 8
    .kernarg_segment_size: 140
    .language:       OpenCL C
    .language_version:
      - 2
      - 0
    .max_flat_workgroup_size: 1024
    .name:           _ZN9rocsparseL29bsrmm_general_blockdim_kernelILj32ELj32Eli21rocsparse_complex_numIfES2_S2_S2_EEvb20rocsparse_direction_T2_S4_llNS_24const_host_device_scalarIT6_EEPKT1_PKS4_PKT3_S4_PKT4_llS7_PT5_ll16rocsparse_order_21rocsparse_index_base_b
    .private_segment_fixed_size: 0
    .sgpr_count:     54
    .sgpr_spill_count: 0
    .symbol:         _ZN9rocsparseL29bsrmm_general_blockdim_kernelILj32ELj32Eli21rocsparse_complex_numIfES2_S2_S2_EEvb20rocsparse_direction_T2_S4_llNS_24const_host_device_scalarIT6_EEPKT1_PKS4_PKT3_S4_PKT4_llS7_PT5_ll16rocsparse_order_21rocsparse_index_base_b.kd
    .uniform_work_group_size: 1
    .uses_dynamic_stack: false
    .vgpr_count:     54
    .vgpr_spill_count: 0
    .wavefront_size: 64
  - .agpr_count:     0
    .args:
      - .offset:         0
        .size:           1
        .value_kind:     by_value
      - .offset:         4
        .size:           4
        .value_kind:     by_value
      - .offset:         8
        .size:           8
        .value_kind:     by_value
      - .offset:         16
        .size:           8
        .value_kind:     by_value
      - .offset:         24
        .size:           8
        .value_kind:     by_value
      - .offset:         32
        .size:           8
        .value_kind:     by_value
      - .offset:         40
        .size:           8
        .value_kind:     by_value
      - .actual_access:  read_only
        .address_space:  global
        .offset:         48
        .size:           8
        .value_kind:     global_buffer
      - .actual_access:  read_only
        .address_space:  global
        .offset:         56
        .size:           8
        .value_kind:     global_buffer
      - .actual_access:  read_only
        .address_space:  global
        .offset:         64
        .size:           8
        .value_kind:     global_buffer
      - .offset:         72
        .size:           8
        .value_kind:     by_value
      - .actual_access:  read_only
        .address_space:  global
        .offset:         80
        .size:           8
        .value_kind:     global_buffer
      - .offset:         88
        .size:           8
        .value_kind:     by_value
      - .offset:         96
        .size:           8
        .value_kind:     by_value
      - .offset:         104
        .size:           8
        .value_kind:     by_value
      - .address_space:  global
        .offset:         112
        .size:           8
        .value_kind:     global_buffer
      - .offset:         120
        .size:           8
        .value_kind:     by_value
      - .offset:         128
        .size:           8
        .value_kind:     by_value
      - .offset:         136
        .size:           4
        .value_kind:     by_value
      - .offset:         140
        .size:           4
        .value_kind:     by_value
      - .offset:         144
        .size:           1
        .value_kind:     by_value
    .group_segment_fixed_size: 16384
    .kernarg_segment_align: 8
    .kernarg_segment_size: 148
    .language:       OpenCL C
    .language_version:
      - 2
      - 0
    .max_flat_workgroup_size: 1024
    .name:           _ZN9rocsparseL29bsrmm_general_blockdim_kernelILj32ELj32Ell21rocsparse_complex_numIfES2_S2_S2_EEvb20rocsparse_direction_T2_S4_llNS_24const_host_device_scalarIT6_EEPKT1_PKS4_PKT3_S4_PKT4_llS7_PT5_ll16rocsparse_order_21rocsparse_index_base_b
    .private_segment_fixed_size: 0
    .sgpr_count:     66
    .sgpr_spill_count: 0
    .symbol:         _ZN9rocsparseL29bsrmm_general_blockdim_kernelILj32ELj32Ell21rocsparse_complex_numIfES2_S2_S2_EEvb20rocsparse_direction_T2_S4_llNS_24const_host_device_scalarIT6_EEPKT1_PKS4_PKT3_S4_PKT4_llS7_PT5_ll16rocsparse_order_21rocsparse_index_base_b.kd
    .uniform_work_group_size: 1
    .uses_dynamic_stack: false
    .vgpr_count:     62
    .vgpr_spill_count: 0
    .wavefront_size: 64
  - .agpr_count:     0
    .args:
      - .offset:         0
        .size:           1
        .value_kind:     by_value
      - .offset:         4
        .size:           4
        .value_kind:     by_value
      - .offset:         8
        .size:           4
        .value_kind:     by_value
      - .offset:         12
        .size:           4
        .value_kind:     by_value
      - .offset:         16
        .size:           8
        .value_kind:     by_value
      - .offset:         24
        .size:           8
        .value_kind:     by_value
      - .offset:         32
        .size:           16
        .value_kind:     by_value
      - .actual_access:  read_only
        .address_space:  global
        .offset:         48
        .size:           8
        .value_kind:     global_buffer
      - .actual_access:  read_only
        .address_space:  global
        .offset:         56
        .size:           8
        .value_kind:     global_buffer
      - .actual_access:  read_only
        .address_space:  global
        .offset:         64
        .size:           8
        .value_kind:     global_buffer
      - .offset:         72
        .size:           4
        .value_kind:     by_value
      - .actual_access:  read_only
        .address_space:  global
        .offset:         80
        .size:           8
        .value_kind:     global_buffer
      - .offset:         88
        .size:           8
        .value_kind:     by_value
      - .offset:         96
        .size:           8
        .value_kind:     by_value
      - .offset:         104
        .size:           16
        .value_kind:     by_value
      - .address_space:  global
        .offset:         120
        .size:           8
        .value_kind:     global_buffer
      - .offset:         128
        .size:           8
        .value_kind:     by_value
      - .offset:         136
        .size:           8
        .value_kind:     by_value
      - .offset:         144
        .size:           4
        .value_kind:     by_value
      - .offset:         148
        .size:           4
        .value_kind:     by_value
      - .offset:         152
        .size:           1
        .value_kind:     by_value
    .group_segment_fixed_size: 32768
    .kernarg_segment_align: 8
    .kernarg_segment_size: 156
    .language:       OpenCL C
    .language_version:
      - 2
      - 0
    .max_flat_workgroup_size: 1024
    .name:           _ZN9rocsparseL29bsrmm_general_blockdim_kernelILj32ELj32Eii21rocsparse_complex_numIdES2_S2_S2_EEvb20rocsparse_direction_T2_S4_llNS_24const_host_device_scalarIT6_EEPKT1_PKS4_PKT3_S4_PKT4_llS7_PT5_ll16rocsparse_order_21rocsparse_index_base_b
    .private_segment_fixed_size: 24
    .sgpr_count:     56
    .sgpr_spill_count: 0
    .symbol:         _ZN9rocsparseL29bsrmm_general_blockdim_kernelILj32ELj32Eii21rocsparse_complex_numIdES2_S2_S2_EEvb20rocsparse_direction_T2_S4_llNS_24const_host_device_scalarIT6_EEPKT1_PKS4_PKT3_S4_PKT4_llS7_PT5_ll16rocsparse_order_21rocsparse_index_base_b.kd
    .uniform_work_group_size: 1
    .uses_dynamic_stack: false
    .vgpr_count:     56
    .vgpr_spill_count: 0
    .wavefront_size: 64
  - .agpr_count:     0
    .args:
      - .offset:         0
        .size:           1
        .value_kind:     by_value
      - .offset:         4
        .size:           4
        .value_kind:     by_value
      - .offset:         8
        .size:           4
        .value_kind:     by_value
      - .offset:         12
        .size:           4
        .value_kind:     by_value
      - .offset:         16
        .size:           8
        .value_kind:     by_value
      - .offset:         24
        .size:           8
        .value_kind:     by_value
      - .offset:         32
        .size:           16
        .value_kind:     by_value
      - .actual_access:  read_only
        .address_space:  global
        .offset:         48
        .size:           8
        .value_kind:     global_buffer
      - .actual_access:  read_only
        .address_space:  global
        .offset:         56
        .size:           8
        .value_kind:     global_buffer
      - .actual_access:  read_only
        .address_space:  global
        .offset:         64
        .size:           8
        .value_kind:     global_buffer
      - .offset:         72
        .size:           4
        .value_kind:     by_value
      - .actual_access:  read_only
        .address_space:  global
        .offset:         80
        .size:           8
        .value_kind:     global_buffer
      - .offset:         88
        .size:           8
        .value_kind:     by_value
      - .offset:         96
        .size:           8
        .value_kind:     by_value
      - .offset:         104
        .size:           16
        .value_kind:     by_value
      - .address_space:  global
        .offset:         120
        .size:           8
        .value_kind:     global_buffer
      - .offset:         128
        .size:           8
        .value_kind:     by_value
      - .offset:         136
        .size:           8
        .value_kind:     by_value
      - .offset:         144
        .size:           4
        .value_kind:     by_value
      - .offset:         148
        .size:           4
        .value_kind:     by_value
      - .offset:         152
        .size:           1
        .value_kind:     by_value
    .group_segment_fixed_size: 32768
    .kernarg_segment_align: 8
    .kernarg_segment_size: 156
    .language:       OpenCL C
    .language_version:
      - 2
      - 0
    .max_flat_workgroup_size: 1024
    .name:           _ZN9rocsparseL29bsrmm_general_blockdim_kernelILj32ELj32Eli21rocsparse_complex_numIdES2_S2_S2_EEvb20rocsparse_direction_T2_S4_llNS_24const_host_device_scalarIT6_EEPKT1_PKS4_PKT3_S4_PKT4_llS7_PT5_ll16rocsparse_order_21rocsparse_index_base_b
    .private_segment_fixed_size: 24
    .sgpr_count:     60
    .sgpr_spill_count: 0
    .symbol:         _ZN9rocsparseL29bsrmm_general_blockdim_kernelILj32ELj32Eli21rocsparse_complex_numIdES2_S2_S2_EEvb20rocsparse_direction_T2_S4_llNS_24const_host_device_scalarIT6_EEPKT1_PKS4_PKT3_S4_PKT4_llS7_PT5_ll16rocsparse_order_21rocsparse_index_base_b.kd
    .uniform_work_group_size: 1
    .uses_dynamic_stack: false
    .vgpr_count:     54
    .vgpr_spill_count: 0
    .wavefront_size: 64
  - .agpr_count:     0
    .args:
      - .offset:         0
        .size:           1
        .value_kind:     by_value
      - .offset:         4
        .size:           4
        .value_kind:     by_value
      - .offset:         8
        .size:           8
        .value_kind:     by_value
      - .offset:         16
        .size:           8
        .value_kind:     by_value
      - .offset:         24
        .size:           8
        .value_kind:     by_value
      - .offset:         32
        .size:           8
        .value_kind:     by_value
      - .offset:         40
        .size:           16
        .value_kind:     by_value
      - .actual_access:  read_only
        .address_space:  global
        .offset:         56
        .size:           8
        .value_kind:     global_buffer
      - .actual_access:  read_only
        .address_space:  global
        .offset:         64
        .size:           8
        .value_kind:     global_buffer
      - .actual_access:  read_only
        .address_space:  global
        .offset:         72
        .size:           8
        .value_kind:     global_buffer
      - .offset:         80
        .size:           8
        .value_kind:     by_value
      - .actual_access:  read_only
        .address_space:  global
        .offset:         88
        .size:           8
        .value_kind:     global_buffer
      - .offset:         96
        .size:           8
        .value_kind:     by_value
      - .offset:         104
        .size:           8
        .value_kind:     by_value
      - .offset:         112
        .size:           16
        .value_kind:     by_value
      - .address_space:  global
        .offset:         128
        .size:           8
        .value_kind:     global_buffer
      - .offset:         136
        .size:           8
        .value_kind:     by_value
      - .offset:         144
        .size:           8
        .value_kind:     by_value
      - .offset:         152
        .size:           4
        .value_kind:     by_value
      - .offset:         156
        .size:           4
        .value_kind:     by_value
      - .offset:         160
        .size:           1
        .value_kind:     by_value
    .group_segment_fixed_size: 32768
    .kernarg_segment_align: 8
    .kernarg_segment_size: 164
    .language:       OpenCL C
    .language_version:
      - 2
      - 0
    .max_flat_workgroup_size: 1024
    .name:           _ZN9rocsparseL29bsrmm_general_blockdim_kernelILj32ELj32Ell21rocsparse_complex_numIdES2_S2_S2_EEvb20rocsparse_direction_T2_S4_llNS_24const_host_device_scalarIT6_EEPKT1_PKS4_PKT3_S4_PKT4_llS7_PT5_ll16rocsparse_order_21rocsparse_index_base_b
    .private_segment_fixed_size: 24
    .sgpr_count:     70
    .sgpr_spill_count: 0
    .symbol:         _ZN9rocsparseL29bsrmm_general_blockdim_kernelILj32ELj32Ell21rocsparse_complex_numIdES2_S2_S2_EEvb20rocsparse_direction_T2_S4_llNS_24const_host_device_scalarIT6_EEPKT1_PKS4_PKT3_S4_PKT4_llS7_PT5_ll16rocsparse_order_21rocsparse_index_base_b.kd
    .uniform_work_group_size: 1
    .uses_dynamic_stack: false
    .vgpr_count:     68
    .vgpr_spill_count: 0
    .wavefront_size: 64
  - .agpr_count:     0
    .args:
      - .offset:         0
        .size:           1
        .value_kind:     by_value
      - .offset:         4
        .size:           4
        .value_kind:     by_value
      - .offset:         8
        .size:           4
        .value_kind:     by_value
      - .offset:         12
        .size:           4
        .value_kind:     by_value
      - .offset:         16
        .size:           8
        .value_kind:     by_value
      - .offset:         24
        .size:           8
        .value_kind:     by_value
      - .offset:         32
        .size:           8
        .value_kind:     by_value
      - .actual_access:  read_only
        .address_space:  global
        .offset:         40
        .size:           8
        .value_kind:     global_buffer
      - .actual_access:  read_only
        .address_space:  global
        .offset:         48
        .size:           8
        .value_kind:     global_buffer
      - .actual_access:  read_only
        .address_space:  global
        .offset:         56
        .size:           8
        .value_kind:     global_buffer
      - .offset:         64
        .size:           4
        .value_kind:     by_value
      - .actual_access:  read_only
        .address_space:  global
        .offset:         72
        .size:           8
        .value_kind:     global_buffer
      - .offset:         80
        .size:           8
        .value_kind:     by_value
      - .offset:         88
        .size:           8
        .value_kind:     by_value
      - .offset:         96
        .size:           8
        .value_kind:     by_value
      - .address_space:  global
        .offset:         104
        .size:           8
        .value_kind:     global_buffer
      - .offset:         112
        .size:           8
        .value_kind:     by_value
      - .offset:         120
        .size:           8
        .value_kind:     by_value
      - .offset:         128
        .size:           4
        .value_kind:     by_value
      - .offset:         132
        .size:           4
        .value_kind:     by_value
      - .offset:         136
        .size:           1
        .value_kind:     by_value
    .group_segment_fixed_size: 8192
    .kernarg_segment_align: 8
    .kernarg_segment_size: 140
    .language:       OpenCL C
    .language_version:
      - 2
      - 0
    .max_flat_workgroup_size: 1024
    .name:           _ZN9rocsparseL29bsrmm_general_blockdim_kernelILj32ELj32EiiDF16_DF16_ffEEvb20rocsparse_direction_T2_S2_llNS_24const_host_device_scalarIT6_EEPKT1_PKS2_PKT3_S2_PKT4_llS5_PT5_ll16rocsparse_order_21rocsparse_index_base_b
    .private_segment_fixed_size: 0
    .sgpr_count:     52
    .sgpr_spill_count: 0
    .symbol:         _ZN9rocsparseL29bsrmm_general_blockdim_kernelILj32ELj32EiiDF16_DF16_ffEEvb20rocsparse_direction_T2_S2_llNS_24const_host_device_scalarIT6_EEPKT1_PKS2_PKT3_S2_PKT4_llS5_PT5_ll16rocsparse_order_21rocsparse_index_base_b.kd
    .uniform_work_group_size: 1
    .uses_dynamic_stack: false
    .vgpr_count:     42
    .vgpr_spill_count: 0
    .wavefront_size: 64
  - .agpr_count:     0
    .args:
      - .offset:         0
        .size:           1
        .value_kind:     by_value
      - .offset:         4
        .size:           4
        .value_kind:     by_value
      - .offset:         8
        .size:           4
        .value_kind:     by_value
      - .offset:         12
        .size:           4
        .value_kind:     by_value
      - .offset:         16
        .size:           8
        .value_kind:     by_value
      - .offset:         24
        .size:           8
        .value_kind:     by_value
      - .offset:         32
        .size:           8
        .value_kind:     by_value
      - .actual_access:  read_only
        .address_space:  global
        .offset:         40
        .size:           8
        .value_kind:     global_buffer
      - .actual_access:  read_only
        .address_space:  global
        .offset:         48
        .size:           8
        .value_kind:     global_buffer
      - .actual_access:  read_only
        .address_space:  global
        .offset:         56
        .size:           8
        .value_kind:     global_buffer
      - .offset:         64
        .size:           4
        .value_kind:     by_value
      - .actual_access:  read_only
        .address_space:  global
        .offset:         72
        .size:           8
        .value_kind:     global_buffer
      - .offset:         80
        .size:           8
        .value_kind:     by_value
      - .offset:         88
        .size:           8
        .value_kind:     by_value
      - .offset:         96
        .size:           8
        .value_kind:     by_value
      - .address_space:  global
        .offset:         104
        .size:           8
        .value_kind:     global_buffer
      - .offset:         112
        .size:           8
        .value_kind:     by_value
      - .offset:         120
        .size:           8
        .value_kind:     by_value
      - .offset:         128
        .size:           4
        .value_kind:     by_value
      - .offset:         132
        .size:           4
        .value_kind:     by_value
      - .offset:         136
        .size:           1
        .value_kind:     by_value
    .group_segment_fixed_size: 8192
    .kernarg_segment_align: 8
    .kernarg_segment_size: 140
    .language:       OpenCL C
    .language_version:
      - 2
      - 0
    .max_flat_workgroup_size: 1024
    .name:           _ZN9rocsparseL29bsrmm_general_blockdim_kernelILj32ELj32EliDF16_DF16_ffEEvb20rocsparse_direction_T2_S2_llNS_24const_host_device_scalarIT6_EEPKT1_PKS2_PKT3_S2_PKT4_llS5_PT5_ll16rocsparse_order_21rocsparse_index_base_b
    .private_segment_fixed_size: 0
    .sgpr_count:     56
    .sgpr_spill_count: 0
    .symbol:         _ZN9rocsparseL29bsrmm_general_blockdim_kernelILj32ELj32EliDF16_DF16_ffEEvb20rocsparse_direction_T2_S2_llNS_24const_host_device_scalarIT6_EEPKT1_PKS2_PKT3_S2_PKT4_llS5_PT5_ll16rocsparse_order_21rocsparse_index_base_b.kd
    .uniform_work_group_size: 1
    .uses_dynamic_stack: false
    .vgpr_count:     40
    .vgpr_spill_count: 0
    .wavefront_size: 64
  - .agpr_count:     0
    .args:
      - .offset:         0
        .size:           1
        .value_kind:     by_value
      - .offset:         4
        .size:           4
        .value_kind:     by_value
      - .offset:         8
        .size:           8
        .value_kind:     by_value
      - .offset:         16
        .size:           8
        .value_kind:     by_value
      - .offset:         24
        .size:           8
        .value_kind:     by_value
      - .offset:         32
        .size:           8
        .value_kind:     by_value
      - .offset:         40
        .size:           8
        .value_kind:     by_value
      - .actual_access:  read_only
        .address_space:  global
        .offset:         48
        .size:           8
        .value_kind:     global_buffer
      - .actual_access:  read_only
        .address_space:  global
        .offset:         56
        .size:           8
        .value_kind:     global_buffer
      - .actual_access:  read_only
        .address_space:  global
        .offset:         64
        .size:           8
        .value_kind:     global_buffer
      - .offset:         72
        .size:           8
        .value_kind:     by_value
      - .actual_access:  read_only
        .address_space:  global
        .offset:         80
        .size:           8
        .value_kind:     global_buffer
      - .offset:         88
        .size:           8
        .value_kind:     by_value
      - .offset:         96
        .size:           8
        .value_kind:     by_value
      - .offset:         104
        .size:           8
        .value_kind:     by_value
      - .address_space:  global
        .offset:         112
        .size:           8
        .value_kind:     global_buffer
      - .offset:         120
        .size:           8
        .value_kind:     by_value
      - .offset:         128
        .size:           8
        .value_kind:     by_value
      - .offset:         136
        .size:           4
        .value_kind:     by_value
      - .offset:         140
        .size:           4
        .value_kind:     by_value
      - .offset:         144
        .size:           1
        .value_kind:     by_value
    .group_segment_fixed_size: 8192
    .kernarg_segment_align: 8
    .kernarg_segment_size: 148
    .language:       OpenCL C
    .language_version:
      - 2
      - 0
    .max_flat_workgroup_size: 1024
    .name:           _ZN9rocsparseL29bsrmm_general_blockdim_kernelILj32ELj32EllDF16_DF16_ffEEvb20rocsparse_direction_T2_S2_llNS_24const_host_device_scalarIT6_EEPKT1_PKS2_PKT3_S2_PKT4_llS5_PT5_ll16rocsparse_order_21rocsparse_index_base_b
    .private_segment_fixed_size: 0
    .sgpr_count:     66
    .sgpr_spill_count: 0
    .symbol:         _ZN9rocsparseL29bsrmm_general_blockdim_kernelILj32ELj32EllDF16_DF16_ffEEvb20rocsparse_direction_T2_S2_llNS_24const_host_device_scalarIT6_EEPKT1_PKS2_PKT3_S2_PKT4_llS5_PT5_ll16rocsparse_order_21rocsparse_index_base_b.kd
    .uniform_work_group_size: 1
    .uses_dynamic_stack: false
    .vgpr_count:     52
    .vgpr_spill_count: 0
    .wavefront_size: 64
  - .agpr_count:     0
    .args:
      - .offset:         0
        .size:           1
        .value_kind:     by_value
      - .offset:         4
        .size:           4
        .value_kind:     by_value
      - .offset:         8
        .size:           4
        .value_kind:     by_value
      - .offset:         12
        .size:           4
        .value_kind:     by_value
      - .offset:         16
        .size:           8
        .value_kind:     by_value
      - .offset:         24
        .size:           8
        .value_kind:     by_value
      - .offset:         32
        .size:           8
        .value_kind:     by_value
      - .actual_access:  read_only
        .address_space:  global
        .offset:         40
        .size:           8
        .value_kind:     global_buffer
      - .actual_access:  read_only
        .address_space:  global
        .offset:         48
        .size:           8
        .value_kind:     global_buffer
      - .actual_access:  read_only
        .address_space:  global
        .offset:         56
        .size:           8
        .value_kind:     global_buffer
      - .offset:         64
        .size:           4
        .value_kind:     by_value
      - .actual_access:  read_only
        .address_space:  global
        .offset:         72
        .size:           8
        .value_kind:     global_buffer
      - .offset:         80
        .size:           8
        .value_kind:     by_value
      - .offset:         88
        .size:           8
        .value_kind:     by_value
      - .offset:         96
        .size:           8
        .value_kind:     by_value
      - .address_space:  global
        .offset:         104
        .size:           8
        .value_kind:     global_buffer
      - .offset:         112
        .size:           8
        .value_kind:     by_value
      - .offset:         120
        .size:           8
        .value_kind:     by_value
      - .offset:         128
        .size:           4
        .value_kind:     by_value
      - .offset:         132
        .size:           4
        .value_kind:     by_value
      - .offset:         136
        .size:           1
        .value_kind:     by_value
    .group_segment_fixed_size: 8192
    .kernarg_segment_align: 8
    .kernarg_segment_size: 140
    .language:       OpenCL C
    .language_version:
      - 2
      - 0
    .max_flat_workgroup_size: 1024
    .name:           _ZN9rocsparseL29bsrmm_general_blockdim_kernelILj32ELj32EiiaaiiEEvb20rocsparse_direction_T2_S2_llNS_24const_host_device_scalarIT6_EEPKT1_PKS2_PKT3_S2_PKT4_llS5_PT5_ll16rocsparse_order_21rocsparse_index_base_b
    .private_segment_fixed_size: 0
    .sgpr_count:     52
    .sgpr_spill_count: 0
    .symbol:         _ZN9rocsparseL29bsrmm_general_blockdim_kernelILj32ELj32EiiaaiiEEvb20rocsparse_direction_T2_S2_llNS_24const_host_device_scalarIT6_EEPKT1_PKS2_PKT3_S2_PKT4_llS5_PT5_ll16rocsparse_order_21rocsparse_index_base_b.kd
    .uniform_work_group_size: 1
    .uses_dynamic_stack: false
    .vgpr_count:     61
    .vgpr_spill_count: 0
    .wavefront_size: 64
  - .agpr_count:     0
    .args:
      - .offset:         0
        .size:           1
        .value_kind:     by_value
      - .offset:         4
        .size:           4
        .value_kind:     by_value
      - .offset:         8
        .size:           4
        .value_kind:     by_value
      - .offset:         12
        .size:           4
        .value_kind:     by_value
      - .offset:         16
        .size:           8
        .value_kind:     by_value
      - .offset:         24
        .size:           8
        .value_kind:     by_value
      - .offset:         32
        .size:           8
        .value_kind:     by_value
      - .actual_access:  read_only
        .address_space:  global
        .offset:         40
        .size:           8
        .value_kind:     global_buffer
      - .actual_access:  read_only
        .address_space:  global
        .offset:         48
        .size:           8
        .value_kind:     global_buffer
      - .actual_access:  read_only
        .address_space:  global
        .offset:         56
        .size:           8
        .value_kind:     global_buffer
      - .offset:         64
        .size:           4
        .value_kind:     by_value
      - .actual_access:  read_only
        .address_space:  global
        .offset:         72
        .size:           8
        .value_kind:     global_buffer
      - .offset:         80
        .size:           8
        .value_kind:     by_value
      - .offset:         88
        .size:           8
        .value_kind:     by_value
      - .offset:         96
        .size:           8
        .value_kind:     by_value
      - .address_space:  global
        .offset:         104
        .size:           8
        .value_kind:     global_buffer
      - .offset:         112
        .size:           8
        .value_kind:     by_value
      - .offset:         120
        .size:           8
        .value_kind:     by_value
      - .offset:         128
        .size:           4
        .value_kind:     by_value
      - .offset:         132
        .size:           4
        .value_kind:     by_value
      - .offset:         136
        .size:           1
        .value_kind:     by_value
    .group_segment_fixed_size: 8192
    .kernarg_segment_align: 8
    .kernarg_segment_size: 140
    .language:       OpenCL C
    .language_version:
      - 2
      - 0
    .max_flat_workgroup_size: 1024
    .name:           _ZN9rocsparseL29bsrmm_general_blockdim_kernelILj32ELj32EliaaiiEEvb20rocsparse_direction_T2_S2_llNS_24const_host_device_scalarIT6_EEPKT1_PKS2_PKT3_S2_PKT4_llS5_PT5_ll16rocsparse_order_21rocsparse_index_base_b
    .private_segment_fixed_size: 0
    .sgpr_count:     56
    .sgpr_spill_count: 0
    .symbol:         _ZN9rocsparseL29bsrmm_general_blockdim_kernelILj32ELj32EliaaiiEEvb20rocsparse_direction_T2_S2_llNS_24const_host_device_scalarIT6_EEPKT1_PKS2_PKT3_S2_PKT4_llS5_PT5_ll16rocsparse_order_21rocsparse_index_base_b.kd
    .uniform_work_group_size: 1
    .uses_dynamic_stack: false
    .vgpr_count:     59
    .vgpr_spill_count: 0
    .wavefront_size: 64
  - .agpr_count:     0
    .args:
      - .offset:         0
        .size:           1
        .value_kind:     by_value
      - .offset:         4
        .size:           4
        .value_kind:     by_value
      - .offset:         8
        .size:           8
        .value_kind:     by_value
      - .offset:         16
        .size:           8
        .value_kind:     by_value
      - .offset:         24
        .size:           8
        .value_kind:     by_value
      - .offset:         32
        .size:           8
        .value_kind:     by_value
      - .offset:         40
        .size:           8
        .value_kind:     by_value
      - .actual_access:  read_only
        .address_space:  global
        .offset:         48
        .size:           8
        .value_kind:     global_buffer
      - .actual_access:  read_only
        .address_space:  global
        .offset:         56
        .size:           8
        .value_kind:     global_buffer
      - .actual_access:  read_only
        .address_space:  global
        .offset:         64
        .size:           8
        .value_kind:     global_buffer
      - .offset:         72
        .size:           8
        .value_kind:     by_value
      - .actual_access:  read_only
        .address_space:  global
        .offset:         80
        .size:           8
        .value_kind:     global_buffer
      - .offset:         88
        .size:           8
        .value_kind:     by_value
      - .offset:         96
        .size:           8
        .value_kind:     by_value
      - .offset:         104
        .size:           8
        .value_kind:     by_value
      - .address_space:  global
        .offset:         112
        .size:           8
        .value_kind:     global_buffer
      - .offset:         120
        .size:           8
        .value_kind:     by_value
      - .offset:         128
        .size:           8
        .value_kind:     by_value
      - .offset:         136
        .size:           4
        .value_kind:     by_value
      - .offset:         140
        .size:           4
        .value_kind:     by_value
      - .offset:         144
        .size:           1
        .value_kind:     by_value
    .group_segment_fixed_size: 8192
    .kernarg_segment_align: 8
    .kernarg_segment_size: 148
    .language:       OpenCL C
    .language_version:
      - 2
      - 0
    .max_flat_workgroup_size: 1024
    .name:           _ZN9rocsparseL29bsrmm_general_blockdim_kernelILj32ELj32EllaaiiEEvb20rocsparse_direction_T2_S2_llNS_24const_host_device_scalarIT6_EEPKT1_PKS2_PKT3_S2_PKT4_llS5_PT5_ll16rocsparse_order_21rocsparse_index_base_b
    .private_segment_fixed_size: 0
    .sgpr_count:     62
    .sgpr_spill_count: 0
    .symbol:         _ZN9rocsparseL29bsrmm_general_blockdim_kernelILj32ELj32EllaaiiEEvb20rocsparse_direction_T2_S2_llNS_24const_host_device_scalarIT6_EEPKT1_PKS2_PKT3_S2_PKT4_llS5_PT5_ll16rocsparse_order_21rocsparse_index_base_b.kd
    .uniform_work_group_size: 1
    .uses_dynamic_stack: false
    .vgpr_count:     68
    .vgpr_spill_count: 0
    .wavefront_size: 64
  - .agpr_count:     0
    .args:
      - .offset:         0
        .size:           1
        .value_kind:     by_value
      - .offset:         4
        .size:           4
        .value_kind:     by_value
      - .offset:         8
        .size:           4
        .value_kind:     by_value
      - .offset:         12
        .size:           4
        .value_kind:     by_value
      - .offset:         16
        .size:           8
        .value_kind:     by_value
      - .offset:         24
        .size:           8
        .value_kind:     by_value
      - .offset:         32
        .size:           8
        .value_kind:     by_value
      - .actual_access:  read_only
        .address_space:  global
        .offset:         40
        .size:           8
        .value_kind:     global_buffer
      - .actual_access:  read_only
        .address_space:  global
        .offset:         48
        .size:           8
        .value_kind:     global_buffer
      - .actual_access:  read_only
        .address_space:  global
        .offset:         56
        .size:           8
        .value_kind:     global_buffer
      - .offset:         64
        .size:           4
        .value_kind:     by_value
      - .actual_access:  read_only
        .address_space:  global
        .offset:         72
        .size:           8
        .value_kind:     global_buffer
      - .offset:         80
        .size:           8
        .value_kind:     by_value
      - .offset:         88
        .size:           8
        .value_kind:     by_value
      - .offset:         96
        .size:           8
        .value_kind:     by_value
      - .address_space:  global
        .offset:         104
        .size:           8
        .value_kind:     global_buffer
      - .offset:         112
        .size:           8
        .value_kind:     by_value
      - .offset:         120
        .size:           8
        .value_kind:     by_value
      - .offset:         128
        .size:           4
        .value_kind:     by_value
      - .offset:         132
        .size:           4
        .value_kind:     by_value
      - .offset:         136
        .size:           1
        .value_kind:     by_value
    .group_segment_fixed_size: 8192
    .kernarg_segment_align: 8
    .kernarg_segment_size: 140
    .language:       OpenCL C
    .language_version:
      - 2
      - 0
    .max_flat_workgroup_size: 1024
    .name:           _ZN9rocsparseL29bsrmm_general_blockdim_kernelILj32ELj32EiiaaffEEvb20rocsparse_direction_T2_S2_llNS_24const_host_device_scalarIT6_EEPKT1_PKS2_PKT3_S2_PKT4_llS5_PT5_ll16rocsparse_order_21rocsparse_index_base_b
    .private_segment_fixed_size: 0
    .sgpr_count:     52
    .sgpr_spill_count: 0
    .symbol:         _ZN9rocsparseL29bsrmm_general_blockdim_kernelILj32ELj32EiiaaffEEvb20rocsparse_direction_T2_S2_llNS_24const_host_device_scalarIT6_EEPKT1_PKS2_PKT3_S2_PKT4_llS5_PT5_ll16rocsparse_order_21rocsparse_index_base_b.kd
    .uniform_work_group_size: 1
    .uses_dynamic_stack: false
    .vgpr_count:     42
    .vgpr_spill_count: 0
    .wavefront_size: 64
  - .agpr_count:     0
    .args:
      - .offset:         0
        .size:           1
        .value_kind:     by_value
      - .offset:         4
        .size:           4
        .value_kind:     by_value
      - .offset:         8
        .size:           4
        .value_kind:     by_value
      - .offset:         12
        .size:           4
        .value_kind:     by_value
      - .offset:         16
        .size:           8
        .value_kind:     by_value
      - .offset:         24
        .size:           8
        .value_kind:     by_value
      - .offset:         32
        .size:           8
        .value_kind:     by_value
      - .actual_access:  read_only
        .address_space:  global
        .offset:         40
        .size:           8
        .value_kind:     global_buffer
      - .actual_access:  read_only
        .address_space:  global
        .offset:         48
        .size:           8
        .value_kind:     global_buffer
      - .actual_access:  read_only
        .address_space:  global
        .offset:         56
        .size:           8
        .value_kind:     global_buffer
      - .offset:         64
        .size:           4
        .value_kind:     by_value
      - .actual_access:  read_only
        .address_space:  global
        .offset:         72
        .size:           8
        .value_kind:     global_buffer
      - .offset:         80
        .size:           8
        .value_kind:     by_value
      - .offset:         88
        .size:           8
        .value_kind:     by_value
      - .offset:         96
        .size:           8
        .value_kind:     by_value
      - .address_space:  global
        .offset:         104
        .size:           8
        .value_kind:     global_buffer
      - .offset:         112
        .size:           8
        .value_kind:     by_value
      - .offset:         120
        .size:           8
        .value_kind:     by_value
      - .offset:         128
        .size:           4
        .value_kind:     by_value
      - .offset:         132
        .size:           4
        .value_kind:     by_value
      - .offset:         136
        .size:           1
        .value_kind:     by_value
    .group_segment_fixed_size: 8192
    .kernarg_segment_align: 8
    .kernarg_segment_size: 140
    .language:       OpenCL C
    .language_version:
      - 2
      - 0
    .max_flat_workgroup_size: 1024
    .name:           _ZN9rocsparseL29bsrmm_general_blockdim_kernelILj32ELj32EliaaffEEvb20rocsparse_direction_T2_S2_llNS_24const_host_device_scalarIT6_EEPKT1_PKS2_PKT3_S2_PKT4_llS5_PT5_ll16rocsparse_order_21rocsparse_index_base_b
    .private_segment_fixed_size: 0
    .sgpr_count:     56
    .sgpr_spill_count: 0
    .symbol:         _ZN9rocsparseL29bsrmm_general_blockdim_kernelILj32ELj32EliaaffEEvb20rocsparse_direction_T2_S2_llNS_24const_host_device_scalarIT6_EEPKT1_PKS2_PKT3_S2_PKT4_llS5_PT5_ll16rocsparse_order_21rocsparse_index_base_b.kd
    .uniform_work_group_size: 1
    .uses_dynamic_stack: false
    .vgpr_count:     40
    .vgpr_spill_count: 0
    .wavefront_size: 64
  - .agpr_count:     0
    .args:
      - .offset:         0
        .size:           1
        .value_kind:     by_value
      - .offset:         4
        .size:           4
        .value_kind:     by_value
      - .offset:         8
        .size:           8
        .value_kind:     by_value
      - .offset:         16
        .size:           8
        .value_kind:     by_value
      - .offset:         24
        .size:           8
        .value_kind:     by_value
      - .offset:         32
        .size:           8
        .value_kind:     by_value
      - .offset:         40
        .size:           8
        .value_kind:     by_value
      - .actual_access:  read_only
        .address_space:  global
        .offset:         48
        .size:           8
        .value_kind:     global_buffer
      - .actual_access:  read_only
        .address_space:  global
        .offset:         56
        .size:           8
        .value_kind:     global_buffer
      - .actual_access:  read_only
        .address_space:  global
        .offset:         64
        .size:           8
        .value_kind:     global_buffer
      - .offset:         72
        .size:           8
        .value_kind:     by_value
      - .actual_access:  read_only
        .address_space:  global
        .offset:         80
        .size:           8
        .value_kind:     global_buffer
      - .offset:         88
        .size:           8
        .value_kind:     by_value
      - .offset:         96
        .size:           8
        .value_kind:     by_value
      - .offset:         104
        .size:           8
        .value_kind:     by_value
      - .address_space:  global
        .offset:         112
        .size:           8
        .value_kind:     global_buffer
      - .offset:         120
        .size:           8
        .value_kind:     by_value
      - .offset:         128
        .size:           8
        .value_kind:     by_value
      - .offset:         136
        .size:           4
        .value_kind:     by_value
      - .offset:         140
        .size:           4
        .value_kind:     by_value
      - .offset:         144
        .size:           1
        .value_kind:     by_value
    .group_segment_fixed_size: 8192
    .kernarg_segment_align: 8
    .kernarg_segment_size: 148
    .language:       OpenCL C
    .language_version:
      - 2
      - 0
    .max_flat_workgroup_size: 1024
    .name:           _ZN9rocsparseL29bsrmm_general_blockdim_kernelILj32ELj32EllaaffEEvb20rocsparse_direction_T2_S2_llNS_24const_host_device_scalarIT6_EEPKT1_PKS2_PKT3_S2_PKT4_llS5_PT5_ll16rocsparse_order_21rocsparse_index_base_b
    .private_segment_fixed_size: 0
    .sgpr_count:     62
    .sgpr_spill_count: 0
    .symbol:         _ZN9rocsparseL29bsrmm_general_blockdim_kernelILj32ELj32EllaaffEEvb20rocsparse_direction_T2_S2_llNS_24const_host_device_scalarIT6_EEPKT1_PKS2_PKT3_S2_PKT4_llS5_PT5_ll16rocsparse_order_21rocsparse_index_base_b.kd
    .uniform_work_group_size: 1
    .uses_dynamic_stack: false
    .vgpr_count:     50
    .vgpr_spill_count: 0
    .wavefront_size: 64
amdhsa.target:   amdgcn-amd-amdhsa--gfx90a
amdhsa.version:
  - 1
  - 2
...

	.end_amdgpu_metadata
